;; amdgpu-corpus repo=ROCm/rocFFT kind=compiled arch=gfx1030 opt=O3
	.text
	.amdgcn_target "amdgcn-amd-amdhsa--gfx1030"
	.amdhsa_code_object_version 6
	.protected	fft_rtc_back_len3200_factors_10_10_4_4_2_wgs_160_tpt_160_halfLds_half_ip_CI_unitstride_sbrr_R2C_dirReg ; -- Begin function fft_rtc_back_len3200_factors_10_10_4_4_2_wgs_160_tpt_160_halfLds_half_ip_CI_unitstride_sbrr_R2C_dirReg
	.globl	fft_rtc_back_len3200_factors_10_10_4_4_2_wgs_160_tpt_160_halfLds_half_ip_CI_unitstride_sbrr_R2C_dirReg
	.p2align	8
	.type	fft_rtc_back_len3200_factors_10_10_4_4_2_wgs_160_tpt_160_halfLds_half_ip_CI_unitstride_sbrr_R2C_dirReg,@function
fft_rtc_back_len3200_factors_10_10_4_4_2_wgs_160_tpt_160_halfLds_half_ip_CI_unitstride_sbrr_R2C_dirReg: ; @fft_rtc_back_len3200_factors_10_10_4_4_2_wgs_160_tpt_160_halfLds_half_ip_CI_unitstride_sbrr_R2C_dirReg
; %bb.0:
	s_clause 0x2
	s_load_dwordx4 s[8:11], s[4:5], 0x0
	s_load_dwordx2 s[2:3], s[4:5], 0x50
	s_load_dwordx2 s[12:13], s[4:5], 0x18
	v_mul_u32_u24_e32 v1, 0x19a, v0
	v_mov_b32_e32 v3, 0
	v_add_nc_u32_sdwa v5, s6, v1 dst_sel:DWORD dst_unused:UNUSED_PAD src0_sel:DWORD src1_sel:WORD_1
	v_mov_b32_e32 v1, 0
	v_mov_b32_e32 v6, v3
	v_mov_b32_e32 v2, 0
	s_waitcnt lgkmcnt(0)
	v_cmp_lt_u64_e64 s0, s[10:11], 2
	s_and_b32 vcc_lo, exec_lo, s0
	s_cbranch_vccnz .LBB0_8
; %bb.1:
	s_load_dwordx2 s[0:1], s[4:5], 0x10
	v_mov_b32_e32 v1, 0
	s_add_u32 s6, s12, 8
	v_mov_b32_e32 v2, 0
	s_addc_u32 s7, s13, 0
	s_mov_b64 s[16:17], 1
	s_waitcnt lgkmcnt(0)
	s_add_u32 s14, s0, 8
	s_addc_u32 s15, s1, 0
.LBB0_2:                                ; =>This Inner Loop Header: Depth=1
	s_load_dwordx2 s[18:19], s[14:15], 0x0
                                        ; implicit-def: $vgpr7_vgpr8
	s_mov_b32 s0, exec_lo
	s_waitcnt lgkmcnt(0)
	v_or_b32_e32 v4, s19, v6
	v_cmpx_ne_u64_e32 0, v[3:4]
	s_xor_b32 s1, exec_lo, s0
	s_cbranch_execz .LBB0_4
; %bb.3:                                ;   in Loop: Header=BB0_2 Depth=1
	v_cvt_f32_u32_e32 v4, s18
	v_cvt_f32_u32_e32 v7, s19
	s_sub_u32 s0, 0, s18
	s_subb_u32 s20, 0, s19
	v_fmac_f32_e32 v4, 0x4f800000, v7
	v_rcp_f32_e32 v4, v4
	v_mul_f32_e32 v4, 0x5f7ffffc, v4
	v_mul_f32_e32 v7, 0x2f800000, v4
	v_trunc_f32_e32 v7, v7
	v_fmac_f32_e32 v4, 0xcf800000, v7
	v_cvt_u32_f32_e32 v7, v7
	v_cvt_u32_f32_e32 v4, v4
	v_mul_lo_u32 v8, s0, v7
	v_mul_hi_u32 v9, s0, v4
	v_mul_lo_u32 v10, s20, v4
	v_add_nc_u32_e32 v8, v9, v8
	v_mul_lo_u32 v9, s0, v4
	v_add_nc_u32_e32 v8, v8, v10
	v_mul_hi_u32 v10, v4, v9
	v_mul_lo_u32 v11, v4, v8
	v_mul_hi_u32 v12, v4, v8
	v_mul_hi_u32 v13, v7, v9
	v_mul_lo_u32 v9, v7, v9
	v_mul_hi_u32 v14, v7, v8
	v_mul_lo_u32 v8, v7, v8
	v_add_co_u32 v10, vcc_lo, v10, v11
	v_add_co_ci_u32_e32 v11, vcc_lo, 0, v12, vcc_lo
	v_add_co_u32 v9, vcc_lo, v10, v9
	v_add_co_ci_u32_e32 v9, vcc_lo, v11, v13, vcc_lo
	v_add_co_ci_u32_e32 v10, vcc_lo, 0, v14, vcc_lo
	v_add_co_u32 v8, vcc_lo, v9, v8
	v_add_co_ci_u32_e32 v9, vcc_lo, 0, v10, vcc_lo
	v_add_co_u32 v4, vcc_lo, v4, v8
	v_add_co_ci_u32_e32 v7, vcc_lo, v7, v9, vcc_lo
	v_mul_hi_u32 v8, s0, v4
	v_mul_lo_u32 v10, s20, v4
	v_mul_lo_u32 v9, s0, v7
	v_add_nc_u32_e32 v8, v8, v9
	v_mul_lo_u32 v9, s0, v4
	v_add_nc_u32_e32 v8, v8, v10
	v_mul_hi_u32 v10, v4, v9
	v_mul_lo_u32 v11, v4, v8
	v_mul_hi_u32 v12, v4, v8
	v_mul_hi_u32 v13, v7, v9
	v_mul_lo_u32 v9, v7, v9
	v_mul_hi_u32 v14, v7, v8
	v_mul_lo_u32 v8, v7, v8
	v_add_co_u32 v10, vcc_lo, v10, v11
	v_add_co_ci_u32_e32 v11, vcc_lo, 0, v12, vcc_lo
	v_add_co_u32 v9, vcc_lo, v10, v9
	v_add_co_ci_u32_e32 v9, vcc_lo, v11, v13, vcc_lo
	v_add_co_ci_u32_e32 v10, vcc_lo, 0, v14, vcc_lo
	v_add_co_u32 v8, vcc_lo, v9, v8
	v_add_co_ci_u32_e32 v9, vcc_lo, 0, v10, vcc_lo
	v_add_co_u32 v4, vcc_lo, v4, v8
	v_add_co_ci_u32_e32 v11, vcc_lo, v7, v9, vcc_lo
	v_mul_hi_u32 v13, v5, v4
	v_mad_u64_u32 v[9:10], null, v6, v4, 0
	v_mad_u64_u32 v[7:8], null, v5, v11, 0
	;; [unrolled: 1-line block ×3, first 2 shown]
	v_add_co_u32 v4, vcc_lo, v13, v7
	v_add_co_ci_u32_e32 v7, vcc_lo, 0, v8, vcc_lo
	v_add_co_u32 v4, vcc_lo, v4, v9
	v_add_co_ci_u32_e32 v4, vcc_lo, v7, v10, vcc_lo
	v_add_co_ci_u32_e32 v7, vcc_lo, 0, v12, vcc_lo
	v_add_co_u32 v4, vcc_lo, v4, v11
	v_add_co_ci_u32_e32 v9, vcc_lo, 0, v7, vcc_lo
	v_mul_lo_u32 v10, s19, v4
	v_mad_u64_u32 v[7:8], null, s18, v4, 0
	v_mul_lo_u32 v11, s18, v9
	v_sub_co_u32 v7, vcc_lo, v5, v7
	v_add3_u32 v8, v8, v11, v10
	v_sub_nc_u32_e32 v10, v6, v8
	v_subrev_co_ci_u32_e64 v10, s0, s19, v10, vcc_lo
	v_add_co_u32 v11, s0, v4, 2
	v_add_co_ci_u32_e64 v12, s0, 0, v9, s0
	v_sub_co_u32 v13, s0, v7, s18
	v_sub_co_ci_u32_e32 v8, vcc_lo, v6, v8, vcc_lo
	v_subrev_co_ci_u32_e64 v10, s0, 0, v10, s0
	v_cmp_le_u32_e32 vcc_lo, s18, v13
	v_cmp_eq_u32_e64 s0, s19, v8
	v_cndmask_b32_e64 v13, 0, -1, vcc_lo
	v_cmp_le_u32_e32 vcc_lo, s19, v10
	v_cndmask_b32_e64 v14, 0, -1, vcc_lo
	v_cmp_le_u32_e32 vcc_lo, s18, v7
	;; [unrolled: 2-line block ×3, first 2 shown]
	v_cndmask_b32_e64 v15, 0, -1, vcc_lo
	v_cmp_eq_u32_e32 vcc_lo, s19, v10
	v_cndmask_b32_e64 v7, v15, v7, s0
	v_cndmask_b32_e32 v10, v14, v13, vcc_lo
	v_add_co_u32 v13, vcc_lo, v4, 1
	v_add_co_ci_u32_e32 v14, vcc_lo, 0, v9, vcc_lo
	v_cmp_ne_u32_e32 vcc_lo, 0, v10
	v_cndmask_b32_e32 v8, v14, v12, vcc_lo
	v_cndmask_b32_e32 v10, v13, v11, vcc_lo
	v_cmp_ne_u32_e32 vcc_lo, 0, v7
	v_cndmask_b32_e32 v8, v9, v8, vcc_lo
	v_cndmask_b32_e32 v7, v4, v10, vcc_lo
.LBB0_4:                                ;   in Loop: Header=BB0_2 Depth=1
	s_andn2_saveexec_b32 s0, s1
	s_cbranch_execz .LBB0_6
; %bb.5:                                ;   in Loop: Header=BB0_2 Depth=1
	v_cvt_f32_u32_e32 v4, s18
	s_sub_i32 s1, 0, s18
	v_rcp_iflag_f32_e32 v4, v4
	v_mul_f32_e32 v4, 0x4f7ffffe, v4
	v_cvt_u32_f32_e32 v4, v4
	v_mul_lo_u32 v7, s1, v4
	v_mul_hi_u32 v7, v4, v7
	v_add_nc_u32_e32 v4, v4, v7
	v_mul_hi_u32 v4, v5, v4
	v_mul_lo_u32 v7, v4, s18
	v_add_nc_u32_e32 v8, 1, v4
	v_sub_nc_u32_e32 v7, v5, v7
	v_subrev_nc_u32_e32 v9, s18, v7
	v_cmp_le_u32_e32 vcc_lo, s18, v7
	v_cndmask_b32_e32 v7, v7, v9, vcc_lo
	v_cndmask_b32_e32 v4, v4, v8, vcc_lo
	v_cmp_le_u32_e32 vcc_lo, s18, v7
	v_add_nc_u32_e32 v8, 1, v4
	v_cndmask_b32_e32 v7, v4, v8, vcc_lo
	v_mov_b32_e32 v8, v3
.LBB0_6:                                ;   in Loop: Header=BB0_2 Depth=1
	s_or_b32 exec_lo, exec_lo, s0
	s_load_dwordx2 s[0:1], s[6:7], 0x0
	v_mul_lo_u32 v4, v8, s18
	v_mul_lo_u32 v11, v7, s19
	v_mad_u64_u32 v[9:10], null, v7, s18, 0
	s_add_u32 s16, s16, 1
	s_addc_u32 s17, s17, 0
	s_add_u32 s6, s6, 8
	s_addc_u32 s7, s7, 0
	;; [unrolled: 2-line block ×3, first 2 shown]
	v_add3_u32 v4, v10, v11, v4
	v_sub_co_u32 v5, vcc_lo, v5, v9
	v_sub_co_ci_u32_e32 v4, vcc_lo, v6, v4, vcc_lo
	s_waitcnt lgkmcnt(0)
	v_mul_lo_u32 v6, s1, v5
	v_mul_lo_u32 v4, s0, v4
	v_mad_u64_u32 v[1:2], null, s0, v5, v[1:2]
	v_cmp_ge_u64_e64 s0, s[16:17], s[10:11]
	s_and_b32 vcc_lo, exec_lo, s0
	v_add3_u32 v2, v6, v2, v4
	s_cbranch_vccnz .LBB0_9
; %bb.7:                                ;   in Loop: Header=BB0_2 Depth=1
	v_mov_b32_e32 v5, v7
	v_mov_b32_e32 v6, v8
	s_branch .LBB0_2
.LBB0_8:
	v_mov_b32_e32 v8, v6
	v_mov_b32_e32 v7, v5
.LBB0_9:
	s_lshl_b64 s[0:1], s[10:11], 3
	v_mul_hi_u32 v3, 0x199999a, v0
	s_add_u32 s0, s12, s0
	s_addc_u32 s1, s13, s1
	s_load_dwordx2 s[4:5], s[4:5], 0x20
	s_load_dwordx2 s[0:1], s[0:1], 0x0
                                        ; implicit-def: $vgpr21
                                        ; implicit-def: $vgpr40_vgpr41
	v_mul_u32_u24_e32 v3, 0xa0, v3
	v_sub_nc_u32_e32 v16, v0, v3
	v_add_nc_u32_e32 v24, 0xa0, v16
	v_add_nc_u32_e32 v36, 0x140, v16
	;; [unrolled: 1-line block ×4, first 2 shown]
	v_or_b32_e32 v18, 0x500, v16
	s_waitcnt lgkmcnt(0)
	v_cmp_gt_u64_e32 vcc_lo, s[4:5], v[7:8]
	v_mul_lo_u32 v3, s0, v8
	v_mul_lo_u32 v4, s1, v7
	v_mad_u64_u32 v[0:1], null, s0, v7, v[1:2]
	v_cmp_le_u64_e64 s0, s[4:5], v[7:8]
	v_add_nc_u32_e32 v34, 0x320, v16
	v_add_nc_u32_e32 v38, 0x1e0, v16
	;; [unrolled: 1-line block ×4, first 2 shown]
	v_add3_u32 v1, v4, v1, v3
	s_and_saveexec_b32 s1, s0
	s_xor_b32 s0, exec_lo, s1
	s_cbranch_execz .LBB0_11
; %bb.10:
	v_mov_b32_e32 v17, 0
	v_or_b32_e32 v21, 0x500, v16
	v_add_nc_u32_e32 v24, 0xa0, v16
	v_add_nc_u32_e32 v36, 0x140, v16
	;; [unrolled: 1-line block ×3, first 2 shown]
	v_mov_b32_e32 v22, v17
	v_add_nc_u32_e32 v30, 0x3c0, v16
	v_add_nc_u32_e32 v34, 0x320, v16
	;; [unrolled: 1-line block ×4, first 2 shown]
	v_mov_b32_e32 v41, v22
	v_add_nc_u32_e32 v28, 0x5a0, v16
	v_mov_b32_e32 v25, v17
	v_mov_b32_e32 v37, v17
	;; [unrolled: 1-line block ×9, first 2 shown]
.LBB0_11:
	s_or_saveexec_b32 s1, s0
	v_lshlrev_b64 v[22:23], 2, v[0:1]
	v_or_b32_e32 v20, 0xa00, v16
	s_xor_b32 exec_lo, exec_lo, s1
	s_cbranch_execz .LBB0_13
; %bb.12:
	v_mov_b32_e32 v17, 0
	v_add_co_u32 v12, s0, s2, v22
	v_add_co_ci_u32_e64 v13, s0, s3, v23, s0
	v_lshlrev_b64 v[0:1], 2, v[16:17]
	v_mov_b32_e32 v19, v17
	v_mov_b32_e32 v21, v17
	;; [unrolled: 1-line block ×5, first 2 shown]
	v_add_co_u32 v0, s0, v12, v0
	v_add_co_ci_u32_e64 v1, s0, v13, v1, s0
	v_lshlrev_b64 v[6:7], 2, v[18:19]
	v_add_co_u32 v2, s0, 0x800, v0
	v_add_co_ci_u32_e64 v3, s0, 0, v1, s0
	v_add_co_u32 v4, s0, 0x1000, v0
	v_add_co_ci_u32_e64 v5, s0, 0, v1, s0
	s_clause 0x7
	global_load_dword v14, v[0:1], off
	global_load_dword v15, v[0:1], off offset:640
	global_load_dword v42, v[0:1], off offset:1280
	;; [unrolled: 1-line block ×7, first 2 shown]
	v_add_co_u32 v2, s0, v12, v6
	v_add_co_ci_u32_e64 v3, s0, v13, v7, s0
	v_add_co_u32 v6, s0, 0x1800, v0
	v_lshlrev_b64 v[10:11], 2, v[20:21]
	v_add_co_ci_u32_e64 v7, s0, 0, v1, s0
	v_add_co_u32 v8, s0, 0x2000, v0
	v_add_co_ci_u32_e64 v9, s0, 0, v1, s0
	s_clause 0x5
	global_load_dword v48, v[6:7], off offset:256
	global_load_dword v49, v[6:7], off offset:896
	;; [unrolled: 1-line block ×6, first 2 shown]
	v_add_co_u32 v6, s0, v12, v10
	v_add_co_ci_u32_e64 v7, s0, v13, v11, s0
	v_add_co_u32 v0, s0, 0x2800, v0
	v_add_co_ci_u32_e64 v1, s0, 0, v1, s0
	s_clause 0x5
	global_load_dword v2, v[2:3], off
	global_load_dword v3, v[4:5], off offset:1664
	global_load_dword v4, v[6:7], off
	global_load_dword v5, v[0:1], off offset:640
	global_load_dword v6, v[0:1], off offset:1280
	;; [unrolled: 1-line block ×3, first 2 shown]
	v_lshl_add_u32 v1, v16, 2, 0
	v_mov_b32_e32 v41, v19
	v_mov_b32_e32 v21, v18
	;; [unrolled: 1-line block ×8, first 2 shown]
	v_add_nc_u32_e32 v7, 0x400, v1
	v_add_nc_u32_e32 v9, 0xa00, v1
	v_add_nc_u32_e32 v10, 0xe00, v1
	v_add_nc_u32_e32 v11, 0x1400, v1
	v_add_nc_u32_e32 v12, 0x1800, v1
	v_add_nc_u32_e32 v13, 0x1e00, v1
	v_add_nc_u32_e32 v53, 0x2200, v1
	v_add_nc_u32_e32 v54, 0x2800, v1
	v_add_nc_u32_e32 v55, 0x2c00, v1
	s_waitcnt vmcnt(18)
	ds_write2_b32 v1, v14, v15 offset1:160
	s_waitcnt vmcnt(16)
	ds_write2_b32 v7, v42, v43 offset0:64 offset1:224
	s_waitcnt vmcnt(14)
	ds_write2_b32 v9, v44, v45 offset1:160
	s_waitcnt vmcnt(12)
	ds_write2_b32 v10, v46, v47 offset0:64 offset1:224
	s_waitcnt vmcnt(4)
	ds_write2_b32 v11, v2, v3 offset1:160
	ds_write2_b32 v12, v48, v49 offset0:64 offset1:224
	ds_write2_b32 v13, v50, v51 offset1:160
	ds_write2_b32 v53, v52, v8 offset0:64 offset1:224
	s_waitcnt vmcnt(2)
	ds_write2_b32 v54, v4, v5 offset1:160
	s_waitcnt vmcnt(0)
	ds_write2_b32 v55, v6, v0 offset0:64 offset1:224
.LBB0_13:
	s_or_b32 exec_lo, exec_lo, s1
	v_lshlrev_b32_e32 v19, 2, v16
	s_waitcnt lgkmcnt(0)
	s_barrier
	buffer_gl0_inv
	v_lshl_add_u32 v21, v21, 2, 0
	v_add_nc_u32_e32 v44, 0, v19
	v_cmp_gt_u32_e64 s0, 0x64, v16
	v_sub_nc_u32_e32 v19, 0, v19
	s_add_u32 s1, s8, 0x31d8
	s_addc_u32 s4, s9, 0
	v_add_nc_u32_e32 v0, 0xa00, v44
	v_add_nc_u32_e32 v1, 0x1400, v44
	;; [unrolled: 1-line block ×5, first 2 shown]
	ds_read2_b32 v[2:3], v0 offset1:160
	ds_read2_b32 v[4:5], v1 offset1:160
	;; [unrolled: 1-line block ×5, first 2 shown]
	v_add_nc_u32_e32 v51, 0x1800, v44
	v_add_nc_u32_e32 v52, 0x2200, v44
	;; [unrolled: 1-line block ×3, first 2 shown]
	ds_read2_b32 v[10:11], v10 offset0:64 offset1:224
	ds_read2_b32 v[12:13], v12 offset0:64 offset1:224
	;; [unrolled: 1-line block ×4, first 2 shown]
	s_mov_b32 s5, exec_lo
	s_waitcnt lgkmcnt(7)
	v_sub_f16_e32 v54, v3, v5
	s_waitcnt lgkmcnt(6)
	v_add_f16_e32 v47, v5, v7
	s_waitcnt lgkmcnt(5)
	v_sub_f16_sdwa v48, v3, v9 dst_sel:DWORD dst_unused:UNUSED_PAD src0_sel:WORD_1 src1_sel:WORD_1
	s_waitcnt lgkmcnt(4)
	v_pk_add_f16 v42, v1, v3
	v_sub_f16_sdwa v49, v5, v7 dst_sel:DWORD dst_unused:UNUSED_PAD src0_sel:WORD_1 src1_sel:WORD_1
	v_add_f16_e32 v55, v3, v9
	v_sub_f16_e32 v56, v5, v3
	v_add_f16_sdwa v57, v5, v7 dst_sel:DWORD dst_unused:UNUSED_PAD src0_sel:WORD_1 src1_sel:WORD_1
	v_sub_f16_e32 v58, v3, v9
	v_sub_f16_e32 v59, v5, v7
	v_sub_f16_sdwa v60, v3, v5 dst_sel:DWORD dst_unused:UNUSED_PAD src0_sel:WORD_1 src1_sel:WORD_1
	v_add_f16_sdwa v61, v3, v9 dst_sel:DWORD dst_unused:UNUSED_PAD src0_sel:WORD_1 src1_sel:WORD_1
	v_sub_f16_sdwa v62, v5, v3 dst_sel:DWORD dst_unused:UNUSED_PAD src0_sel:WORD_1 src1_sel:WORD_1
	v_pk_add_f16 v3, v0, v2
	v_pk_add_f16 v5, v42, v5
	v_add_nc_u32_e32 v42, 0x2c00, v44
	v_add_f16_e32 v63, v4, v6
	v_sub_f16_sdwa v64, v2, v8 dst_sel:DWORD dst_unused:UNUSED_PAD src0_sel:WORD_1 src1_sel:WORD_1
	v_sub_f16_sdwa v65, v4, v6 dst_sel:DWORD dst_unused:UNUSED_PAD src0_sel:WORD_1 src1_sel:WORD_1
	v_sub_f16_e32 v66, v2, v4
	v_add_f16_e32 v67, v2, v8
	v_sub_f16_e32 v68, v4, v2
	v_add_f16_sdwa v69, v4, v6 dst_sel:DWORD dst_unused:UNUSED_PAD src0_sel:WORD_1 src1_sel:WORD_1
	v_sub_f16_e32 v70, v4, v6
	v_sub_f16_sdwa v71, v2, v4 dst_sel:DWORD dst_unused:UNUSED_PAD src0_sel:WORD_1 src1_sel:WORD_1
	v_pk_add_f16 v3, v3, v4
	v_sub_f16_sdwa v72, v4, v2 dst_sel:DWORD dst_unused:UNUSED_PAD src0_sel:WORD_1 src1_sel:WORD_1
	v_sub_f16_e32 v73, v2, v8
	v_add_f16_sdwa v74, v2, v8 dst_sel:DWORD dst_unused:UNUSED_PAD src0_sel:WORD_1 src1_sel:WORD_1
	v_pk_add_f16 v2, v5, v7
	ds_read2_b32 v[4:5], v42 offset0:64 offset1:224
	v_pk_add_f16 v3, v3, v6
	s_waitcnt lgkmcnt(3)
	v_pk_add_f16 v80, v11, v13
	s_waitcnt lgkmcnt(1)
	v_add_f16_sdwa v91, v14, v45 dst_sel:DWORD dst_unused:UNUSED_PAD src0_sel:WORD_1 src1_sel:WORD_1
	v_lshrrev_b32_e32 v101, 16, v10
	v_sub_f16_e32 v77, v8, v6
	v_sub_f16_e32 v78, v6, v8
	v_sub_f16_sdwa v79, v8, v6 dst_sel:DWORD dst_unused:UNUSED_PAD src0_sel:WORD_1 src1_sel:WORD_1
	v_sub_f16_sdwa v6, v6, v8 dst_sel:DWORD dst_unused:UNUSED_PAD src0_sel:WORD_1 src1_sel:WORD_1
	v_pk_add_f16 v8, v3, v8
	v_pk_add_f16 v3, v80, v15
	v_add_f16_e32 v87, v14, v45
	v_fma_f16 v91, -0.5, v91, v101
	v_pk_add_f16 v81, v10, v12
	v_sub_f16_e32 v92, v14, v45
	v_sub_f16_sdwa v93, v12, v14 dst_sel:DWORD dst_unused:UNUSED_PAD src0_sel:WORD_1 src1_sel:WORD_1
	v_pk_add_f16 v3, v3, v46
	v_fma_f16 v87, -0.5, v87, v10
	v_sub_f16_e32 v53, v9, v7
	v_sub_f16_e32 v75, v7, v9
	s_waitcnt lgkmcnt(0)
	v_sub_f16_e32 v99, v12, v4
	v_sub_f16_sdwa v97, v12, v4 dst_sel:DWORD dst_unused:UNUSED_PAD src0_sel:WORD_1 src1_sel:WORD_1
	v_sub_f16_sdwa v106, v4, v45 dst_sel:DWORD dst_unused:UNUSED_PAD src0_sel:WORD_1 src1_sel:WORD_1
	;; [unrolled: 1-line block ×4, first 2 shown]
	v_fmamk_f16 v107, v99, 0x3b9c, v91
	v_pk_add_f16 v2, v2, v9
	v_pk_add_f16 v9, v81, v14
	v_add_f16_e32 v80, v15, v46
	v_sub_f16_sdwa v81, v15, v46 dst_sel:DWORD dst_unused:UNUSED_PAD src0_sel:WORD_1 src1_sel:WORD_1
	v_sub_f16_e32 v82, v13, v15
	v_sub_f16_e32 v83, v15, v13
	v_add_f16_sdwa v84, v15, v46 dst_sel:DWORD dst_unused:UNUSED_PAD src0_sel:WORD_1 src1_sel:WORD_1
	v_sub_f16_e32 v85, v15, v46
	v_sub_f16_sdwa v86, v13, v15 dst_sel:DWORD dst_unused:UNUSED_PAD src0_sel:WORD_1 src1_sel:WORD_1
	v_sub_f16_sdwa v15, v15, v13 dst_sel:DWORD dst_unused:UNUSED_PAD src0_sel:WORD_1 src1_sel:WORD_1
	;; [unrolled: 1-line block ×3, first 2 shown]
	v_sub_f16_e32 v89, v12, v14
	v_sub_f16_sdwa v94, v13, v5 dst_sel:DWORD dst_unused:UNUSED_PAD src0_sel:WORD_1 src1_sel:WORD_1
	v_add_f16_e32 v95, v13, v5
	v_sub_f16_e32 v96, v13, v5
	v_add_f16_sdwa v13, v13, v5 dst_sel:DWORD dst_unused:UNUSED_PAD src0_sel:WORD_1 src1_sel:WORD_1
	v_sub_f16_e32 v100, v5, v46
	v_sub_f16_e32 v102, v46, v5
	v_sub_f16_sdwa v103, v5, v46 dst_sel:DWORD dst_unused:UNUSED_PAD src0_sel:WORD_1 src1_sel:WORD_1
	v_sub_f16_sdwa v46, v46, v5 dst_sel:DWORD dst_unused:UNUSED_PAD src0_sel:WORD_1 src1_sel:WORD_1
	v_sub_f16_e32 v104, v4, v45
	v_pk_add_f16 v3, v3, v5
	v_fmamk_f16 v5, v97, 0xbb9c, v87
	v_add_f16_e32 v93, v93, v106
	v_lshrrev_b32_e32 v106, 16, v0
	v_fmac_f16_e32 v107, 0x38b4, v92
	v_add_f16_e32 v89, v89, v104
	v_fmac_f16_e32 v5, 0xb8b4, v88
	v_fma_f16 v63, -0.5, v63, v0
	v_fma_f16 v69, -0.5, v69, v106
	v_fmac_f16_e32 v107, 0x34f2, v93
	v_sub_f16_e32 v90, v14, v12
	v_sub_f16_sdwa v14, v14, v12 dst_sel:DWORD dst_unused:UNUSED_PAD src0_sel:WORD_1 src1_sel:WORD_1
	v_add_f16_e32 v98, v12, v4
	v_add_f16_sdwa v12, v12, v4 dst_sel:DWORD dst_unused:UNUSED_PAD src0_sel:WORD_1 src1_sel:WORD_1
	v_add_f16_e32 v66, v66, v77
	v_fmac_f16_e32 v5, 0x34f2, v89
	v_fmamk_f16 v77, v64, 0xbb9c, v63
	v_fmamk_f16 v104, v73, 0x3b9c, v69
	v_mul_f16_e32 v108, 0xb8b4, v107
	v_fma_f16 v0, -0.5, v67, v0
	v_add_f16_e32 v71, v71, v79
	v_mul_f16_e32 v79, 0x38b4, v5
	v_fmac_f16_e32 v77, 0xb8b4, v65
	v_fmac_f16_e32 v104, 0x38b4, v70
	v_fmac_f16_e32 v108, 0x3a79, v5
	v_fmamk_f16 v5, v65, 0x3b9c, v0
	v_fmac_f16_e32 v0, 0xbb9c, v65
	v_fmac_f16_e32 v101, -0.5, v12
	v_pk_add_f16 v9, v9, v45
	v_sub_f16_e32 v105, v45, v4
	v_sub_f16_sdwa v45, v45, v4 dst_sel:DWORD dst_unused:UNUSED_PAD src0_sel:WORD_1 src1_sel:WORD_1
	v_fmac_f16_e32 v79, 0x3a79, v107
	v_fmac_f16_e32 v77, 0x34f2, v66
	;; [unrolled: 1-line block ×3, first 2 shown]
	v_add_f16_e32 v68, v68, v78
	v_fmac_f16_e32 v5, 0xb8b4, v64
	v_fmac_f16_e32 v0, 0x38b4, v64
	v_fma_f16 v10, -0.5, v98, v10
	v_fmamk_f16 v12, v92, 0xbb9c, v101
	v_fmac_f16_e32 v101, 0x3b9c, v92
	v_pk_add_f16 v4, v9, v4
	v_add_f16_e32 v9, v77, v108
	v_add_f16_e32 v67, v104, v79
	v_fmac_f16_e32 v106, -0.5, v74
	v_fmac_f16_e32 v5, 0x34f2, v68
	v_fmac_f16_e32 v0, 0x34f2, v68
	v_fmamk_f16 v68, v88, 0x3b9c, v10
	v_fmac_f16_e32 v10, 0xbb9c, v88
	v_add_f16_e32 v14, v14, v45
	v_fmac_f16_e32 v101, 0xb8b4, v99
	v_fmac_f16_e32 v12, 0x38b4, v99
	v_pack_b32_f16 v9, v9, v67
	v_fmamk_f16 v67, v70, 0xbb9c, v106
	v_fmac_f16_e32 v106, 0x3b9c, v70
	v_add_f16_e32 v45, v90, v105
	v_fmac_f16_e32 v68, 0xb8b4, v97
	v_fmac_f16_e32 v10, 0x38b4, v97
	v_fmac_f16_e32 v101, 0x34f2, v14
	v_fmac_f16_e32 v12, 0x34f2, v14
	v_add_f16_e32 v6, v72, v6
	v_fmac_f16_e32 v67, 0x38b4, v73
	v_fmac_f16_e32 v106, 0xb8b4, v73
	;; [unrolled: 1-line block ×4, first 2 shown]
	v_mul_f16_e32 v14, 0xbb9c, v101
	v_mul_f16_e32 v45, 0xb4f2, v101
	;; [unrolled: 1-line block ×4, first 2 shown]
	v_fmac_f16_e32 v67, 0x34f2, v6
	v_fmac_f16_e32 v106, 0x34f2, v6
	;; [unrolled: 1-line block ×6, first 2 shown]
	v_mad_u32_u24 v78, v16, 36, v44
	v_add_f16_e32 v6, v0, v14
	v_add_f16_e32 v10, v106, v45
	;; [unrolled: 1-line block ×4, first 2 shown]
	v_pk_add_f16 v90, v8, v4
	v_fma_f16 v47, -0.5, v47, v1
	s_barrier
	v_pack_b32_f16 v6, v6, v10
	v_pack_b32_f16 v10, v68, v74
	buffer_gl0_inv
	ds_write2_b32 v78, v90, v9 offset1:1
	v_fmamk_f16 v9, v48, 0xbb9c, v47
	v_fmac_f16_e32 v47, 0x3b9c, v48
	ds_write2_b32 v78, v10, v6 offset0:2 offset1:3
	v_fma_f16 v6, -0.5, v55, v1
	v_add_f16_e32 v10, v54, v53
	v_fmac_f16_e32 v9, 0xb8b4, v49
	v_fmac_f16_e32 v47, 0x38b4, v49
	v_lshrrev_b32_e32 v1, 16, v1
	v_fmamk_f16 v53, v49, 0x3b9c, v6
	v_fmac_f16_e32 v6, 0xbb9c, v49
	v_fmac_f16_e32 v9, 0x34f2, v10
	;; [unrolled: 1-line block ×3, first 2 shown]
	v_fma_f16 v10, -0.5, v57, v1
	v_fmac_f16_e32 v1, -0.5, v61
	v_add_f16_e32 v49, v56, v75
	v_fmac_f16_e32 v53, 0xb8b4, v48
	v_fmac_f16_e32 v6, 0x38b4, v48
	v_fmamk_f16 v48, v58, 0x3b9c, v10
	v_fmamk_f16 v55, v59, 0xbb9c, v1
	v_fmac_f16_e32 v1, 0x3b9c, v59
	v_fmac_f16_e32 v10, 0xbb9c, v58
	v_add_f16_e32 v7, v62, v7
	v_fmac_f16_e32 v53, 0x34f2, v49
	v_fmac_f16_e32 v55, 0x38b4, v58
	;; [unrolled: 1-line block ×4, first 2 shown]
	v_fma_f16 v49, -0.5, v80, v11
	v_add_f16_e32 v54, v60, v76
	v_fmac_f16_e32 v48, 0x38b4, v59
	v_fmac_f16_e32 v10, 0xb8b4, v59
	;; [unrolled: 1-line block ×4, first 2 shown]
	v_fma_f16 v7, -0.5, v95, v11
	v_fmamk_f16 v56, v94, 0xbb9c, v49
	v_fmac_f16_e32 v49, 0x3b9c, v94
	v_lshrrev_b32_e32 v11, 16, v11
	v_fmac_f16_e32 v48, 0x34f2, v54
	v_fmac_f16_e32 v10, 0x34f2, v54
	v_add_f16_e32 v54, v82, v100
	v_fmac_f16_e32 v56, 0xb8b4, v81
	v_fmac_f16_e32 v49, 0x38b4, v81
	v_fma_f16 v59, -0.5, v84, v11
	v_fmac_f16_e32 v11, -0.5, v13
	v_fmamk_f16 v57, v81, 0x3b9c, v7
	v_fmac_f16_e32 v7, 0xbb9c, v81
	v_fmac_f16_e32 v56, 0x34f2, v54
	v_fmamk_f16 v13, v96, 0x3b9c, v59
	v_fmac_f16_e32 v49, 0x34f2, v54
	v_fmamk_f16 v54, v85, 0xbb9c, v11
	v_add_f16_e32 v58, v83, v102
	v_fmac_f16_e32 v57, 0xb8b4, v94
	v_fmac_f16_e32 v7, 0x38b4, v94
	v_add_f16_e32 v60, v86, v103
	v_fmac_f16_e32 v13, 0x38b4, v85
	v_add_f16_e32 v15, v15, v46
	v_fmac_f16_e32 v54, 0x38b4, v96
	v_fmac_f16_e32 v57, 0x34f2, v58
	;; [unrolled: 1-line block ×6, first 2 shown]
	v_mul_f16_e32 v58, 0x38b4, v56
	v_fmac_f16_e32 v91, 0xbb9c, v99
	v_fmac_f16_e32 v11, 0x3b9c, v85
	;; [unrolled: 1-line block ×3, first 2 shown]
	v_mul_f16_e32 v46, 0xb8b4, v13
	v_fmac_f16_e32 v58, 0x3a79, v13
	v_mul_f16_e32 v13, 0x34f2, v54
	v_fmac_f16_e32 v87, 0x3b9c, v97
	v_fmac_f16_e32 v91, 0xb8b4, v92
	;; [unrolled: 1-line block ×4, first 2 shown]
	v_mul_f16_e32 v60, 0xbb9c, v54
	v_fmac_f16_e32 v13, 0x3b9c, v57
	v_fmac_f16_e32 v63, 0x3b9c, v64
	;; [unrolled: 1-line block ×8, first 2 shown]
	v_mul_f16_e32 v54, 0xb8b4, v59
	v_mul_f16_e32 v56, 0xba79, v59
	v_add_f16_e32 v57, v55, v13
	v_sub_f16_e32 v13, v55, v13
	v_fmac_f16_e32 v63, 0x38b4, v65
	v_fmac_f16_e32 v69, 0xb8b4, v70
	;; [unrolled: 1-line block ×3, first 2 shown]
	v_mul_f16_e32 v55, 0xb8b4, v91
	v_mul_f16_e32 v59, 0xba79, v91
	;; [unrolled: 1-line block ×4, first 2 shown]
	v_fmac_f16_e32 v63, 0x34f2, v66
	v_fmac_f16_e32 v69, 0x34f2, v71
	;; [unrolled: 1-line block ×8, first 2 shown]
	v_sub_f16_e32 v0, v0, v14
	v_add_f16_e32 v14, v63, v55
	v_sub_f16_e32 v61, v106, v45
	v_add_f16_e32 v45, v69, v59
	v_add_f16_e32 v7, v9, v46
	v_sub_f16_e32 v9, v9, v46
	v_add_f16_e32 v46, v53, v60
	v_sub_f16_e32 v49, v53, v60
	;; [unrolled: 2-line block ×7, first 2 shown]
	v_sub_f16_e32 v56, v77, v108
	v_sub_f16_e32 v5, v5, v72
	;; [unrolled: 1-line block ×5, first 2 shown]
	v_and_b32_e32 v63, 0xff, v16
	v_sub_f16_e32 v59, v69, v59
	v_pk_add_f16 v4, v8, v4 neg_lo:[0,1] neg_hi:[0,1]
	v_pack_b32_f16 v8, v14, v45
	v_pack_b32_f16 v5, v5, v12
	v_mul_lo_u16 v12, 0xcd, v63
	v_pack_b32_f16 v56, v56, v60
	v_pack_b32_f16 v59, v55, v59
	;; [unrolled: 1-line block ×3, first 2 shown]
	ds_write2_b32 v78, v8, v4 offset0:4 offset1:5
	ds_write2_b32 v78, v56, v5 offset0:6 offset1:7
	;; [unrolled: 1-line block ×3, first 2 shown]
	v_mov_b32_e32 v0, 0xcccd
	v_lshrrev_b16 v55, 11, v12
	v_mul_i32_i24_e32 v62, 10, v24
	v_pack_b32_f16 v5, v53, v58
	v_pk_add_f16 v14, v2, v3
	v_mul_u32_u24_sdwa v0, v24, v0 dst_sel:DWORD dst_unused:UNUSED_PAD src0_sel:WORD_0 src1_sel:DWORD
	v_mul_lo_u16 v4, v55, 10
	v_pk_add_f16 v2, v2, v3 neg_lo:[0,1] neg_hi:[0,1]
	v_mov_b32_e32 v3, 9
	v_lshl_add_u32 v45, v62, 2, 0
	v_lshrrev_b32_e32 v53, 19, v0
	v_sub_nc_u16 v56, v16, v4
	v_pack_b32_f16 v7, v7, v54
	v_pack_b32_f16 v4, v15, v11
	;; [unrolled: 1-line block ×3, first 2 shown]
	v_mul_lo_u16 v11, v53, 10
	v_pack_b32_f16 v9, v47, v10
	v_mul_u32_u24_sdwa v10, v56, v3 dst_sel:DWORD dst_unused:UNUSED_PAD src0_sel:BYTE_0 src1_sel:DWORD
	ds_write2_b32 v45, v14, v7 offset1:1
	v_pack_b32_f16 v7, v46, v57
	v_sub_nc_u16 v54, v24, v11
	v_pack_b32_f16 v1, v6, v1
	v_lshlrev_b32_e32 v46, 2, v10
	v_pack_b32_f16 v0, v49, v13
	ds_write2_b32 v45, v7, v5 offset0:2 offset1:3
	ds_write2_b32 v45, v4, v2 offset0:4 offset1:5
	ds_write2_b32 v45, v8, v0 offset0:6 offset1:7
	v_mul_u32_u24_sdwa v0, v54, v3 dst_sel:DWORD dst_unused:UNUSED_PAD src0_sel:WORD_0 src1_sel:DWORD
	ds_write2_b32 v45, v1, v9 offset0:8 offset1:9
	s_waitcnt lgkmcnt(0)
	s_barrier
	buffer_gl0_inv
	global_load_dwordx4 v[4:7], v46, s[8:9]
	v_lshlrev_b32_e32 v47, 2, v0
	s_clause 0x4
	global_load_dwordx4 v[8:11], v47, s[8:9]
	global_load_dwordx4 v[0:3], v46, s[8:9] offset:16
	global_load_dwordx4 v[12:15], v47, s[8:9] offset:16
	global_load_dword v58, v46, s[8:9] offset:32
	global_load_dword v57, v47, s[8:9] offset:32
	v_lshl_add_u32 v47, v36, 2, 0
	v_lshl_add_u32 v46, v32, 2, 0
	v_mad_i32_i24 v49, 0xffffffdc, v24, v45
	v_lshl_add_u32 v48, v30, 2, 0
	v_add_nc_u32_e32 v62, 0x80, v44
	ds_read_b32 v70, v47
	ds_read_b32 v71, v46
	;; [unrolled: 1-line block ×5, first 2 shown]
	ds_read2st64_b32 v[60:61], v62 offset0:7 offset1:12
	ds_read2st64_b32 v[62:63], v62 offset0:17 offset1:22
	ds_read2_b32 v[64:65], v51 offset0:64 offset1:224
	ds_read2_b32 v[66:67], v43 offset1:160
	ds_read2_b32 v[51:52], v52 offset0:64 offset1:224
	ds_read2_b32 v[68:69], v50 offset1:160
	ds_read_b32 v43, v44
	s_waitcnt lgkmcnt(11)
	v_lshrrev_b32_e32 v50, 16, v70
	s_waitcnt lgkmcnt(10)
	v_lshrrev_b32_e32 v74, 16, v71
	;; [unrolled: 2-line block ×5, first 2 shown]
	v_lshrrev_b32_e32 v78, 16, v61
	s_waitcnt lgkmcnt(5)
	v_lshrrev_b32_e32 v79, 16, v62
	v_lshrrev_b32_e32 v80, 16, v63
	s_waitcnt vmcnt(5)
	v_mul_f16_sdwa v81, v4, v50 dst_sel:DWORD dst_unused:UNUSED_PAD src0_sel:WORD_1 src1_sel:DWORD
	v_mul_f16_sdwa v82, v4, v70 dst_sel:DWORD dst_unused:UNUSED_PAD src0_sel:WORD_1 src1_sel:DWORD
	;; [unrolled: 1-line block ×4, first 2 shown]
	s_waitcnt vmcnt(4)
	v_mul_f16_sdwa v89, v77, v8 dst_sel:DWORD dst_unused:UNUSED_PAD src0_sel:DWORD src1_sel:WORD_1
	v_mul_f16_sdwa v90, v78, v9 dst_sel:DWORD dst_unused:UNUSED_PAD src0_sel:DWORD src1_sel:WORD_1
	;; [unrolled: 1-line block ×3, first 2 shown]
	v_fmac_f16_e32 v81, v4, v70
	v_fma_f16 v50, v4, v50, -v82
	v_fmac_f16_e32 v83, v5, v71
	v_fma_f16 v70, v5, v74, -v84
	v_mul_f16_sdwa v4, v61, v9 dst_sel:DWORD dst_unused:UNUSED_PAD src0_sel:DWORD src1_sel:WORD_1
	v_mul_f16_sdwa v5, v62, v10 dst_sel:DWORD dst_unused:UNUSED_PAD src0_sel:DWORD src1_sel:WORD_1
	v_mul_f16_sdwa v85, v6, v76 dst_sel:DWORD dst_unused:UNUSED_PAD src0_sel:WORD_1 src1_sel:DWORD
	v_mul_f16_sdwa v91, v60, v8 dst_sel:DWORD dst_unused:UNUSED_PAD src0_sel:DWORD src1_sel:WORD_1
	v_mul_f16_sdwa v93, v80, v11 dst_sel:DWORD dst_unused:UNUSED_PAD src0_sel:DWORD src1_sel:WORD_1
	v_fmac_f16_e32 v89, v60, v8
	v_fmac_f16_e32 v90, v61, v9
	;; [unrolled: 1-line block ×3, first 2 shown]
	v_mul_f16_sdwa v60, v63, v11 dst_sel:DWORD dst_unused:UNUSED_PAD src0_sel:DWORD src1_sel:WORD_1
	s_waitcnt lgkmcnt(4)
	v_lshrrev_b32_e32 v61, 16, v64
	s_waitcnt vmcnt(3)
	v_mul_f16_sdwa v62, v64, v0 dst_sel:DWORD dst_unused:UNUSED_PAD src0_sel:DWORD src1_sel:WORD_1
	v_fma_f16 v9, v78, v9, -v4
	v_fma_f16 v10, v79, v10, -v5
	s_waitcnt lgkmcnt(3)
	v_lshrrev_b32_e32 v4, 16, v66
	v_mul_f16_sdwa v5, v66, v1 dst_sel:DWORD dst_unused:UNUSED_PAD src0_sel:DWORD src1_sel:WORD_1
	v_mul_f16_sdwa v86, v6, v73 dst_sel:DWORD dst_unused:UNUSED_PAD src0_sel:WORD_1 src1_sel:DWORD
	v_fmac_f16_e32 v85, v6, v73
	v_fmac_f16_e32 v93, v63, v11
	v_fma_f16 v11, v80, v11, -v60
	v_fma_f16 v60, v61, v0, -v62
	v_mul_f16_sdwa v61, v61, v0 dst_sel:DWORD dst_unused:UNUSED_PAD src0_sel:DWORD src1_sel:WORD_1
	s_waitcnt lgkmcnt(2)
	v_lshrrev_b32_e32 v62, 16, v51
	v_mul_f16_sdwa v63, v51, v2 dst_sel:DWORD dst_unused:UNUSED_PAD src0_sel:DWORD src1_sel:WORD_1
	v_fma_f16 v73, v4, v1, -v5
	v_mul_f16_sdwa v74, v4, v1 dst_sel:DWORD dst_unused:UNUSED_PAD src0_sel:DWORD src1_sel:WORD_1
	ds_read2_b32 v[4:5], v42 offset0:64 offset1:224
	v_mul_f16_sdwa v87, v75, v7 dst_sel:DWORD dst_unused:UNUSED_PAD src0_sel:DWORD src1_sel:WORD_1
	v_fma_f16 v63, v62, v2, -v63
	v_mul_f16_sdwa v62, v62, v2 dst_sel:DWORD dst_unused:UNUSED_PAD src0_sel:DWORD src1_sel:WORD_1
	v_fmac_f16_e32 v61, v64, v0
	v_lshrrev_b32_e32 v0, 16, v65
	v_mul_f16_sdwa v88, v72, v7 dst_sel:DWORD dst_unused:UNUSED_PAD src0_sel:DWORD src1_sel:WORD_1
	v_fmac_f16_e32 v87, v72, v7
	s_waitcnt lgkmcnt(2)
	v_lshrrev_b32_e32 v71, 16, v68
	v_mul_f16_sdwa v72, v68, v3 dst_sel:DWORD dst_unused:UNUSED_PAD src0_sel:DWORD src1_sel:WORD_1
	v_fmac_f16_e32 v74, v66, v1
	v_fmac_f16_e32 v62, v51, v2
	v_lshrrev_b32_e32 v1, 16, v67
	s_waitcnt vmcnt(2)
	v_mul_f16_sdwa v51, v0, v12 dst_sel:DWORD dst_unused:UNUSED_PAD src0_sel:DWORD src1_sel:WORD_1
	v_lshrrev_b32_e32 v2, 16, v52
	v_fma_f16 v72, v71, v3, -v72
	v_mul_f16_sdwa v71, v71, v3 dst_sel:DWORD dst_unused:UNUSED_PAD src0_sel:DWORD src1_sel:WORD_1
	v_mul_f16_sdwa v64, v1, v13 dst_sel:DWORD dst_unused:UNUSED_PAD src0_sel:DWORD src1_sel:WORD_1
	v_fmac_f16_e32 v51, v65, v12
	v_mul_f16_sdwa v66, v2, v14 dst_sel:DWORD dst_unused:UNUSED_PAD src0_sel:DWORD src1_sel:WORD_1
	v_mul_f16_sdwa v65, v65, v12 dst_sel:DWORD dst_unused:UNUSED_PAD src0_sel:DWORD src1_sel:WORD_1
	v_fmac_f16_e32 v71, v68, v3
	v_lshrrev_b32_e32 v3, 16, v69
	v_fmac_f16_e32 v64, v67, v13
	v_mul_f16_sdwa v67, v67, v13 dst_sel:DWORD dst_unused:UNUSED_PAD src0_sel:DWORD src1_sel:WORD_1
	v_fmac_f16_e32 v66, v52, v14
	v_mul_f16_sdwa v52, v52, v14 dst_sel:DWORD dst_unused:UNUSED_PAD src0_sel:DWORD src1_sel:WORD_1
	v_fma_f16 v0, v0, v12, -v65
	s_waitcnt lgkmcnt(0)
	v_lshrrev_b32_e32 v12, 16, v4
	v_mul_f16_sdwa v68, v3, v15 dst_sel:DWORD dst_unused:UNUSED_PAD src0_sel:DWORD src1_sel:WORD_1
	v_fma_f16 v1, v1, v13, -v67
	v_fma_f16 v13, v2, v14, -v52
	s_waitcnt vmcnt(1)
	v_mul_f16_sdwa v2, v4, v58 dst_sel:DWORD dst_unused:UNUSED_PAD src0_sel:DWORD src1_sel:WORD_1
	v_mul_f16_sdwa v14, v12, v58 dst_sel:DWORD dst_unused:UNUSED_PAD src0_sel:DWORD src1_sel:WORD_1
	v_fmac_f16_e32 v68, v69, v15
	v_mul_f16_sdwa v69, v69, v15 dst_sel:DWORD dst_unused:UNUSED_PAD src0_sel:DWORD src1_sel:WORD_1
	v_fma_f16 v6, v6, v76, -v86
	v_fma_f16 v12, v12, v58, -v2
	v_fmac_f16_e32 v14, v4, v58
	v_add_f16_e32 v2, v60, v63
	v_fma_f16 v3, v3, v15, -v69
	v_add_f16_e32 v58, v61, v62
	v_fma_f16 v7, v75, v7, -v88
	v_sub_f16_e32 v69, v85, v14
	v_fma_f16 v67, -0.5, v2, v50
	v_fma_f16 v8, v77, v8, -v91
	v_lshrrev_b32_e32 v65, 16, v5
	v_sub_f16_e32 v75, v6, v60
	v_sub_f16_e32 v76, v12, v63
	v_fma_f16 v58, -0.5, v58, v81
	v_sub_f16_e32 v77, v6, v12
	v_fmamk_f16 v78, v69, 0x3b9c, v67
	v_sub_f16_e32 v79, v61, v62
	s_waitcnt vmcnt(0)
	v_mul_f16_sdwa v52, v65, v57 dst_sel:DWORD dst_unused:UNUSED_PAD src0_sel:DWORD src1_sel:WORD_1
	v_sub_f16_e32 v2, v85, v61
	v_sub_f16_e32 v80, v14, v62
	v_add_f16_e32 v75, v75, v76
	v_fmamk_f16 v76, v77, 0xbb9c, v58
	v_sub_f16_e32 v82, v60, v63
	v_fmac_f16_e32 v78, 0x38b4, v79
	v_mul_f16_sdwa v15, v5, v57 dst_sel:DWORD dst_unused:UNUSED_PAD src0_sel:DWORD src1_sel:WORD_1
	v_fmac_f16_e32 v52, v5, v57
	v_sub_f16_e32 v4, v83, v87
	v_sub_f16_e32 v5, v71, v74
	v_add_f16_e32 v80, v2, v80
	v_fmac_f16_e32 v76, 0xb8b4, v82
	v_fmac_f16_e32 v78, 0x34f2, v75
	v_mov_b32_e32 v86, 0x190
	v_add_f16_e32 v4, v4, v5
	v_sub_f16_e32 v5, v70, v7
	v_sub_f16_e32 v84, v72, v73
	v_fmac_f16_e32 v76, 0x34f2, v80
	v_mul_f16_e32 v88, 0xb8b4, v78
	v_mul_f16_e32 v78, 0x3a79, v78
	v_mul_u32_u24_sdwa v55, v55, v86 dst_sel:DWORD dst_unused:UNUSED_PAD src0_sel:WORD_0 src1_sel:DWORD
	v_lshrrev_b32_e32 v86, 16, v43
	v_add_f16_e32 v95, v87, v74
	v_add_f16_e32 v96, v7, v73
	;; [unrolled: 1-line block ×4, first 2 shown]
	v_fmac_f16_e32 v88, 0x3a79, v76
	v_fmac_f16_e32 v78, 0x38b4, v76
	v_add_f16_e32 v76, v86, v70
	v_add_f16_e32 v91, v81, v85
	;; [unrolled: 1-line block ×3, first 2 shown]
	v_fma_f16 v95, -0.5, v95, v43
	v_sub_f16_e32 v97, v70, v72
	v_fma_f16 v96, -0.5, v96, v86
	v_sub_f16_e32 v98, v83, v71
	v_add_f16_e32 v84, v84, v87
	v_add_f16_e32 v76, v76, v7
	;; [unrolled: 1-line block ×4, first 2 shown]
	v_fmamk_f16 v99, v97, 0xbb9c, v95
	v_sub_f16_e32 v100, v7, v73
	v_fmamk_f16 v101, v98, 0x3b9c, v96
	v_sub_f16_e32 v102, v87, v74
	v_add_f16_e32 v84, v84, v74
	v_add_f16_e32 v76, v76, v73
	;; [unrolled: 1-line block ×4, first 2 shown]
	v_fmac_f16_e32 v99, 0xb8b4, v100
	v_fmac_f16_e32 v101, 0x38b4, v102
	v_mov_b32_e32 v2, 2
	v_add_f16_e32 v84, v84, v71
	v_add_f16_e32 v76, v76, v72
	;; [unrolled: 1-line block ×4, first 2 shown]
	v_fmac_f16_e32 v99, 0x34f2, v4
	v_fmac_f16_e32 v101, 0x34f2, v5
	v_add_f16_e32 v107, v83, v71
	v_lshlrev_b32_sdwa v56, v2, v56 dst_sel:DWORD dst_unused:UNUSED_PAD src0_sel:DWORD src1_sel:BYTE_0
	v_add_f16_e32 v103, v84, v91
	v_add_f16_e32 v104, v76, v94
	;; [unrolled: 1-line block ×4, first 2 shown]
	v_fmac_f16_e32 v43, -0.5, v107
	v_fma_f16 v15, v65, v57, -v15
	v_add3_u32 v55, 0, v55, v56
	v_pack_b32_f16 v56, v103, v104
	v_pack_b32_f16 v57, v105, v106
	v_sub_f16_e32 v65, v87, v83
	v_sub_f16_e32 v71, v74, v71
	v_fmamk_f16 v74, v100, 0x3b9c, v43
	v_fmac_f16_e32 v43, 0xbb9c, v100
	s_barrier
	buffer_gl0_inv
	ds_write2_b32 v55, v56, v57 offset1:10
	v_add_f16_e32 v56, v65, v71
	v_fmac_f16_e32 v74, 0xb8b4, v97
	v_fmac_f16_e32 v43, 0x38b4, v97
	v_add_f16_e32 v57, v70, v72
	v_sub_f16_e32 v61, v61, v85
	v_sub_f16_e32 v7, v7, v70
	v_fmac_f16_e32 v74, 0x34f2, v56
	v_fmac_f16_e32 v43, 0x34f2, v56
	v_add_f16_e32 v56, v6, v12
	v_fmac_f16_e32 v86, -0.5, v57
	v_add_f16_e32 v57, v85, v14
	v_sub_f16_e32 v6, v60, v6
	v_sub_f16_e32 v12, v63, v12
	v_fmac_f16_e32 v50, -0.5, v56
	v_sub_f16_e32 v14, v62, v14
	v_fmac_f16_e32 v81, -0.5, v57
	v_sub_f16_e32 v65, v73, v72
	v_add_f16_e32 v6, v6, v12
	v_fmamk_f16 v56, v79, 0xbb9c, v50
	v_fmac_f16_e32 v50, 0x3b9c, v79
	v_fmamk_f16 v60, v82, 0x3b9c, v81
	v_fmamk_f16 v57, v102, 0xbb9c, v86
	v_add_f16_e32 v12, v61, v14
	v_fmac_f16_e32 v56, 0x38b4, v69
	v_fmac_f16_e32 v81, 0xbb9c, v82
	;; [unrolled: 1-line block ×4, first 2 shown]
	v_add_f16_e32 v7, v7, v65
	v_fmac_f16_e32 v56, 0x34f2, v6
	v_fmac_f16_e32 v86, 0x3b9c, v102
	;; [unrolled: 1-line block ×5, first 2 shown]
	v_mul_f16_e32 v14, 0xbb9c, v56
	v_mul_f16_e32 v56, 0x34f2, v56
	v_fmac_f16_e32 v50, 0x34f2, v6
	v_fmac_f16_e32 v57, 0x34f2, v7
	;; [unrolled: 1-line block ×5, first 2 shown]
	v_mul_f16_e32 v6, 0xbb9c, v50
	v_fmac_f16_e32 v86, 0xb8b4, v98
	v_mul_f16_e32 v12, 0xb4f2, v50
	v_fmac_f16_e32 v67, 0xbb9c, v69
	v_add_f16_e32 v50, v74, v14
	v_add_f16_e32 v60, v57, v56
	v_fmac_f16_e32 v6, 0xb4f2, v81
	v_fmac_f16_e32 v86, 0x34f2, v7
	v_fmac_f16_e32 v12, 0x3b9c, v81
	v_fmac_f16_e32 v58, 0x3b9c, v77
	v_fmac_f16_e32 v67, 0xb8b4, v79
	v_pack_b32_f16 v7, v50, v60
	v_add_f16_e32 v50, v43, v6
	v_add_f16_e32 v60, v86, v12
	v_fmac_f16_e32 v95, 0x3b9c, v97
	v_fmac_f16_e32 v58, 0x38b4, v82
	;; [unrolled: 1-line block ×3, first 2 shown]
	v_sub_f16_e32 v62, v90, v93
	v_pack_b32_f16 v50, v50, v60
	v_fmac_f16_e32 v95, 0x38b4, v100
	v_fmac_f16_e32 v58, 0x34f2, v80
	v_mul_f16_e32 v60, 0xb8b4, v67
	v_sub_f16_e32 v63, v68, v64
	ds_write2_b32 v55, v7, v50 offset0:20 offset1:30
	v_fmac_f16_e32 v95, 0x34f2, v4
	v_sub_f16_e32 v7, v74, v14
	v_fmac_f16_e32 v60, 0xba79, v58
	v_sub_f16_e32 v6, v43, v6
	v_add_f16_e32 v62, v62, v63
	v_add_f16_e32 v63, v90, v68
	v_mul_f16_e32 v61, 0xba79, v67
	v_add_f16_e32 v14, v95, v60
	v_sub_f16_e32 v43, v95, v60
	v_add_f16_e32 v60, v93, v64
	v_sub_f16_e32 v56, v57, v56
	v_lshrrev_b32_e32 v65, 16, v59
	v_add_f16_e32 v67, v59, v90
	v_sub_f16_e32 v70, v11, v1
	v_fma_f16 v57, -0.5, v60, v59
	v_sub_f16_e32 v60, v9, v3
	v_fmac_f16_e32 v59, -0.5, v63
	v_sub_f16_e32 v63, v93, v90
	v_sub_f16_e32 v71, v64, v68
	v_add_f16_e32 v67, v67, v93
	v_fmamk_f16 v69, v60, 0xbb9c, v57
	v_fmac_f16_e32 v57, 0x3b9c, v60
	v_fmamk_f16 v72, v70, 0x3b9c, v59
	v_fmac_f16_e32 v59, 0xbb9c, v70
	v_add_f16_e32 v63, v63, v71
	v_fmac_f16_e32 v69, 0xb8b4, v70
	v_fmac_f16_e32 v57, 0x38b4, v70
	;; [unrolled: 1-line block ×4, first 2 shown]
	v_add_f16_e32 v67, v67, v64
	v_fmac_f16_e32 v69, 0x34f2, v62
	v_fmac_f16_e32 v57, 0x34f2, v62
	v_fmac_f16_e32 v72, 0x34f2, v63
	v_fmac_f16_e32 v59, 0x34f2, v63
	v_add_f16_e32 v62, v67, v68
	v_add_f16_e32 v63, v65, v9
	;; [unrolled: 1-line block ×3, first 2 shown]
	v_sub_f16_e32 v68, v90, v68
	v_sub_f16_e32 v70, v9, v11
	;; [unrolled: 1-line block ×3, first 2 shown]
	v_add_f16_e32 v63, v63, v11
	v_fma_f16 v67, -0.5, v67, v65
	v_add_f16_e32 v73, v9, v3
	v_sub_f16_e32 v64, v93, v64
	v_add_f16_e32 v70, v70, v71
	v_add_f16_e32 v63, v63, v1
	v_fmamk_f16 v71, v68, 0x3b9c, v67
	v_fmac_f16_e32 v67, 0xbb9c, v68
	v_fmac_f16_e32 v65, -0.5, v73
	v_sub_f16_e32 v9, v11, v9
	v_sub_f16_e32 v1, v1, v3
	v_add_f16_e32 v11, v63, v3
	v_fmac_f16_e32 v71, 0x38b4, v64
	v_fmac_f16_e32 v67, 0xb8b4, v64
	v_fmamk_f16 v3, v64, 0xbb9c, v65
	v_fmac_f16_e32 v65, 0x3b9c, v64
	v_add_f16_e32 v63, v51, v66
	v_add_f16_e32 v1, v9, v1
	v_sub_f16_e32 v9, v92, v51
	v_sub_f16_e32 v64, v52, v66
	v_fmac_f16_e32 v71, 0x34f2, v70
	v_fmac_f16_e32 v67, 0x34f2, v70
	;; [unrolled: 1-line block ×3, first 2 shown]
	v_fma_f16 v63, -0.5, v63, v89
	v_sub_f16_e32 v70, v10, v15
	v_fmac_f16_e32 v65, 0xb8b4, v68
	v_add_f16_e32 v68, v92, v52
	v_add_f16_e32 v9, v9, v64
	;; [unrolled: 1-line block ×3, first 2 shown]
	v_fmamk_f16 v73, v70, 0xbb9c, v63
	v_sub_f16_e32 v74, v0, v13
	v_fmac_f16_e32 v89, -0.5, v68
	v_fmac_f16_e32 v63, 0x3b9c, v70
	v_add_f16_e32 v64, v64, v51
	v_sub_f16_e32 v50, v76, v94
	v_sub_f16_e32 v68, v51, v92
	v_sub_f16_e32 v75, v66, v52
	v_fmac_f16_e32 v73, 0xb8b4, v74
	v_fmamk_f16 v76, v74, 0x3b9c, v89
	v_fmac_f16_e32 v89, 0xbb9c, v74
	v_fmac_f16_e32 v63, 0x38b4, v74
	;; [unrolled: 1-line block ×4, first 2 shown]
	v_add_f16_e32 v1, v64, v66
	v_add_f16_e32 v68, v68, v75
	v_fmac_f16_e32 v76, 0xb8b4, v70
	v_fmac_f16_e32 v89, 0x38b4, v70
	;; [unrolled: 1-line block ×4, first 2 shown]
	v_add_f16_e32 v1, v1, v52
	v_sub_f16_e32 v9, v92, v52
	v_add_f16_e32 v52, v0, v13
	v_add_f16_e32 v70, v10, v15
	v_fmac_f16_e32 v96, 0xbb9c, v98
	v_fmac_f16_e32 v76, 0x34f2, v68
	v_fmac_f16_e32 v89, 0x34f2, v68
	v_sub_f16_e32 v64, v10, v0
	v_sub_f16_e32 v68, v15, v13
	v_add_f16_e32 v74, v8, v10
	v_fma_f16 v52, -0.5, v52, v8
	v_sub_f16_e32 v51, v51, v66
	v_fmac_f16_e32 v8, -0.5, v70
	v_fmac_f16_e32 v96, 0xb8b4, v102
	v_add_f16_e32 v64, v64, v68
	v_add_f16_e32 v66, v74, v0
	v_fmamk_f16 v68, v9, 0x3b9c, v52
	v_sub_f16_e32 v0, v0, v10
	v_sub_f16_e32 v10, v13, v15
	v_fmamk_f16 v70, v51, 0xbb9c, v8
	v_fmac_f16_e32 v52, 0xbb9c, v9
	v_fmac_f16_e32 v8, 0x3b9c, v51
	;; [unrolled: 1-line block ×5, first 2 shown]
	v_add_f16_e32 v0, v0, v10
	v_fmac_f16_e32 v70, 0x38b4, v9
	v_fmac_f16_e32 v52, 0xb8b4, v51
	;; [unrolled: 1-line block ×3, first 2 shown]
	v_sub_f16_e32 v4, v84, v91
	v_add_f16_e32 v60, v96, v61
	v_add_f16_e32 v13, v66, v13
	v_fmac_f16_e32 v68, 0x34f2, v64
	v_fmac_f16_e32 v70, 0x34f2, v0
	;; [unrolled: 1-line block ×4, first 2 shown]
	v_sub_f16_e32 v5, v99, v88
	v_sub_f16_e32 v58, v101, v78
	v_add_f16_e32 v10, v13, v15
	v_mul_f16_e32 v9, 0xb8b4, v68
	v_mul_f16_e32 v13, 0x3a79, v68
	;; [unrolled: 1-line block ×6, first 2 shown]
	v_pack_b32_f16 v14, v14, v60
	v_pack_b32_f16 v4, v4, v50
	v_mul_f16_e32 v15, 0xbb9c, v70
	v_pack_b32_f16 v5, v5, v58
	v_pack_b32_f16 v7, v7, v56
	v_sub_f16_e32 v12, v86, v12
	v_sub_f16_e32 v61, v96, v61
	v_fmac_f16_e32 v9, 0x3a79, v73
	v_fmac_f16_e32 v13, 0x38b4, v73
	v_mul_f16_e32 v52, 0xba79, v52
	v_fmac_f16_e32 v0, 0x3b9c, v76
	v_fmac_f16_e32 v51, 0xb4f2, v89
	;; [unrolled: 1-line block ×4, first 2 shown]
	ds_write2_b32 v55, v14, v4 offset0:40 offset1:50
	ds_write2_b32 v55, v5, v7 offset0:60 offset1:70
	v_add_nc_u32_e32 v4, 0xffffff9c, v16
	v_fmac_f16_e32 v15, 0x34f2, v76
	v_fmac_f16_e32 v52, 0x38b4, v63
	v_add_f16_e32 v63, v62, v1
	v_sub_f16_e32 v1, v62, v1
	v_add_f16_e32 v62, v69, v9
	v_sub_f16_e32 v9, v69, v9
	;; [unrolled: 2-line block ×5, first 2 shown]
	v_add_f16_e32 v11, v71, v13
	v_add_f16_e32 v69, v3, v0
	v_sub_f16_e32 v3, v3, v0
	v_add_f16_e32 v0, v65, v8
	v_pack_b32_f16 v6, v6, v12
	v_pack_b32_f16 v12, v43, v61
	v_mul_u32_u24_e32 v43, 0x190, v53
	v_lshlrev_b32_sdwa v50, v2, v54 dst_sel:DWORD dst_unused:UNUSED_PAD src0_sel:DWORD src1_sel:WORD_0
	v_cndmask_b32_e64 v5, v4, v16, s0
	v_add_f16_e32 v66, v72, v15
	v_sub_f16_e32 v15, v72, v15
	v_sub_f16_e32 v13, v71, v13
	ds_write2_b32 v55, v6, v12 offset0:80 offset1:90
	v_add3_u32 v6, 0, v43, v50
	v_pack_b32_f16 v7, v63, v64
	v_pack_b32_f16 v11, v62, v11
	;; [unrolled: 1-line block ×4, first 2 shown]
	v_mul_i32_i24_e32 v0, 3, v5
	v_mov_b32_e32 v1, 0
	v_pack_b32_f16 v4, v66, v69
	v_sub_f16_e32 v8, v65, v8
	v_add_f16_e32 v65, v67, v52
	v_sub_f16_e32 v52, v67, v52
	v_pack_b32_f16 v9, v9, v13
	v_pack_b32_f16 v13, v15, v3
	ds_write2_b32 v6, v7, v11 offset1:10
	ds_write2_b32 v6, v4, v12 offset0:20 offset1:30
	v_lshlrev_b64 v[3:4], 2, v[0:1]
	v_mov_b32_e32 v15, 0x147b
	v_lshrrev_b16 v0, 2, v32
	v_pack_b32_f16 v14, v59, v65
	v_pack_b32_f16 v7, v51, v8
	;; [unrolled: 1-line block ×3, first 2 shown]
	v_add_co_u32 v3, s0, s8, v3
	v_mul_u32_u24_sdwa v0, v0, v15 dst_sel:DWORD dst_unused:UNUSED_PAD src0_sel:WORD_0 src1_sel:DWORD
	ds_write2_b32 v6, v14, v10 offset0:40 offset1:50
	ds_write2_b32 v6, v9, v13 offset0:60 offset1:70
	v_add_co_ci_u32_e64 v4, s0, s9, v4, s0
	ds_write2_b32 v6, v7, v8 offset0:80 offset1:90
	v_lshrrev_b32_e32 v0, 17, v0
	v_lshrrev_b16 v6, 2, v38
	s_waitcnt lgkmcnt(0)
	s_barrier
	buffer_gl0_inv
	v_mul_lo_u16 v7, 0x64, v0
	global_load_dwordx3 v[9:11], v[3:4], off offset:360
	v_mul_u32_u24_sdwa v4, v6, v15 dst_sel:DWORD dst_unused:UNUSED_PAD src0_sel:WORD_0 src1_sel:DWORD
	v_mov_b32_e32 v3, 3
	v_add_nc_u32_e32 v52, 0x2500, v44
	v_sub_nc_u16 v6, v32, v7
	v_lshl_add_u32 v51, v38, 2, 0
	v_lshrrev_b32_e32 v7, 17, v4
	v_add_nc_u32_e32 v53, 0x2000, v44
	v_cmp_lt_u32_e64 s0, 0x63, v16
	v_mul_u32_u24_sdwa v4, v6, v3 dst_sel:DWORD dst_unused:UNUSED_PAD src0_sel:WORD_0 src1_sel:DWORD
	v_lshlrev_b32_e32 v5, 2, v5
	v_mul_lo_u16 v8, 0x64, v7
	v_mul_u32_u24_e32 v7, 0x640, v7
	v_mul_u32_u24_e32 v0, 0x640, v0
	v_lshlrev_b32_e32 v4, 2, v4
	v_sub_nc_u16 v8, v38, v8
	global_load_dwordx3 v[12:14], v4, s[8:9] offset:360
	v_mul_u32_u24_sdwa v43, v8, v3 dst_sel:DWORD dst_unused:UNUSED_PAD src0_sel:WORD_0 src1_sel:DWORD
	v_lshlrev_b32_sdwa v8, v2, v8 dst_sel:DWORD dst_unused:UNUSED_PAD src0_sel:DWORD src1_sel:WORD_0
	v_lshlrev_b32_e32 v43, 2, v43
	v_add3_u32 v7, 0, v7, v8
	global_load_dwordx3 v[56:58], v43, s[8:9] offset:360
	v_lshrrev_b16 v4, 2, v36
	v_mul_u32_u24_sdwa v4, v4, v15 dst_sel:DWORD dst_unused:UNUSED_PAD src0_sel:WORD_0 src1_sel:DWORD
	v_lshrrev_b32_e32 v71, 17, v4
	v_lshrrev_b16 v4, 2, v24
	v_mul_lo_u16 v43, 0x64, v71
	v_mul_u32_u24_sdwa v4, v4, v15 dst_sel:DWORD dst_unused:UNUSED_PAD src0_sel:WORD_0 src1_sel:DWORD
	v_sub_nc_u16 v15, v36, v43
	v_lshrrev_b32_e32 v43, 17, v4
	v_mul_u32_u24_sdwa v4, v15, v3 dst_sel:DWORD dst_unused:UNUSED_PAD src0_sel:WORD_0 src1_sel:DWORD
	v_mul_lo_u16 v50, 0x64, v43
	v_mul_u32_u24_e32 v43, 0x640, v43
	v_lshlrev_b32_sdwa v15, v2, v15 dst_sel:DWORD dst_unused:UNUSED_PAD src0_sel:DWORD src1_sel:WORD_0
	v_lshlrev_b32_e32 v4, 2, v4
	v_sub_nc_u16 v72, v24, v50
	v_lshl_add_u32 v50, v34, 2, 0
	global_load_dwordx3 v[59:61], v4, s[8:9] offset:360
	v_mul_u32_u24_sdwa v3, v72, v3 dst_sel:DWORD dst_unused:UNUSED_PAD src0_sel:WORD_0 src1_sel:DWORD
	v_lshlrev_b32_sdwa v72, v2, v72 dst_sel:DWORD dst_unused:UNUSED_PAD src0_sel:DWORD src1_sel:WORD_0
	v_lshlrev_b32_sdwa v2, v2, v6 dst_sel:DWORD dst_unused:UNUSED_PAD src0_sel:DWORD src1_sel:WORD_0
	v_lshlrev_b32_e32 v3, 2, v3
	v_add3_u32 v43, 0, v43, v72
	v_add3_u32 v0, 0, v0, v2
	global_load_dwordx3 v[62:64], v3, s[8:9] offset:360
	ds_read_b32 v4, v50
	v_add_nc_u32_e32 v3, 0x1600, v44
	ds_read2_b32 v[54:55], v3 offset0:32 offset1:192
	ds_read2_b32 v[65:66], v52 offset0:32 offset1:192
	ds_read_b32 v73, v51
	ds_read_b32 v74, v46
	;; [unrolled: 1-line block ×3, first 2 shown]
	ds_read_b32 v78, v44 offset:12160
	ds_read2_b32 v[67:68], v53 offset0:32 offset1:192
	s_waitcnt lgkmcnt(7)
	v_lshrrev_b32_e32 v69, 16, v4
	s_waitcnt lgkmcnt(6)
	v_lshrrev_b32_e32 v77, 16, v55
	;; [unrolled: 2-line block ×3, first 2 shown]
	v_lshrrev_b32_e32 v83, 16, v54
	s_waitcnt vmcnt(4)
	v_mul_f16_sdwa v76, v9, v69 dst_sel:DWORD dst_unused:UNUSED_PAD src0_sel:WORD_1 src1_sel:DWORD
	v_mul_f16_sdwa v79, v10, v55 dst_sel:DWORD dst_unused:UNUSED_PAD src0_sel:WORD_1 src1_sel:DWORD
	;; [unrolled: 1-line block ×4, first 2 shown]
	v_fmac_f16_e32 v76, v9, v4
	v_fma_f16 v79, v10, v77, -v79
	v_mul_f16_sdwa v77, v10, v77 dst_sel:DWORD dst_unused:UNUSED_PAD src0_sel:WORD_1 src1_sel:DWORD
	v_fma_f16 v81, v11, v80, -v81
	v_mul_f16_sdwa v80, v11, v80 dst_sel:DWORD dst_unused:UNUSED_PAD src0_sel:WORD_1 src1_sel:DWORD
	v_add_nc_u32_e32 v4, 0x1100, v44
	v_fma_f16 v82, v9, v69, -v70
	v_fmac_f16_e32 v77, v10, v55
	v_add_nc_u32_e32 v55, 0x2a00, v44
	v_fmac_f16_e32 v80, v11, v65
	ds_read2_b32 v[9:10], v4 offset0:32 offset1:192
	s_waitcnt lgkmcnt(2)
	v_lshrrev_b32_e32 v11, 16, v78
	ds_read2_b32 v[69:70], v55 offset0:32 offset1:192
	ds_read_b32 v65, v47
	s_waitcnt vmcnt(3)
	v_mul_f16_sdwa v84, v83, v12 dst_sel:DWORD dst_unused:UNUSED_PAD src0_sel:DWORD src1_sel:WORD_1
	v_mul_f16_sdwa v85, v54, v12 dst_sel:DWORD dst_unused:UNUSED_PAD src0_sel:DWORD src1_sel:WORD_1
	;; [unrolled: 1-line block ×3, first 2 shown]
	s_waitcnt lgkmcnt(3)
	v_mul_f16_sdwa v87, v68, v13 dst_sel:DWORD dst_unused:UNUSED_PAD src0_sel:DWORD src1_sel:WORD_1
	v_fmac_f16_e32 v84, v54, v12
	v_mul_f16_sdwa v54, v78, v14 dst_sel:DWORD dst_unused:UNUSED_PAD src0_sel:DWORD src1_sel:WORD_1
	v_fma_f16 v83, v83, v12, -v85
	v_lshrrev_b32_e32 v12, 16, v68
	v_fmac_f16_e32 v86, v78, v14
	v_lshrrev_b32_e32 v85, 16, v67
	v_fma_f16 v78, v11, v14, -v54
	v_add_nc_u32_e32 v54, 0x1b00, v44
	v_mul_f16_sdwa v88, v12, v13 dst_sel:DWORD dst_unused:UNUSED_PAD src0_sel:DWORD src1_sel:WORD_1
	v_fma_f16 v87, v12, v13, -v87
	s_waitcnt vmcnt(2)
	v_mul_f16_sdwa v89, v85, v57 dst_sel:DWORD dst_unused:UNUSED_PAD src0_sel:DWORD src1_sel:WORD_1
	s_waitcnt lgkmcnt(2)
	v_lshrrev_b32_e32 v14, 16, v10
	ds_read2_b32 v[11:12], v54 offset0:32 offset1:192
	v_fmac_f16_e32 v88, v68, v13
	v_mul_f16_sdwa v13, v67, v57 dst_sel:DWORD dst_unused:UNUSED_PAD src0_sel:DWORD src1_sel:WORD_1
	v_mul_f16_sdwa v68, v10, v56 dst_sel:DWORD dst_unused:UNUSED_PAD src0_sel:DWORD src1_sel:WORD_1
	v_fmac_f16_e32 v89, v67, v57
	s_waitcnt lgkmcnt(2)
	v_lshrrev_b32_e32 v67, 16, v70
	v_mul_f16_sdwa v90, v70, v58 dst_sel:DWORD dst_unused:UNUSED_PAD src0_sel:DWORD src1_sel:WORD_1
	v_fma_f16 v57, v85, v57, -v13
	v_fma_f16 v68, v14, v56, -v68
	v_mul_f16_sdwa v85, v14, v56 dst_sel:DWORD dst_unused:UNUSED_PAD src0_sel:DWORD src1_sel:WORD_1
	v_lshrrev_b32_e32 v91, 16, v9
	v_lshrrev_b32_e32 v92, 16, v69
	ds_read2st64_b32 v[13:14], v44 offset1:15
	v_fma_f16 v90, v67, v58, -v90
	v_mul_f16_sdwa v67, v67, v58 dst_sel:DWORD dst_unused:UNUSED_PAD src0_sel:DWORD src1_sel:WORD_1
	v_fmac_f16_e32 v85, v10, v56
	s_waitcnt vmcnt(0) lgkmcnt(0)
	s_barrier
	buffer_gl0_inv
	v_fmac_f16_e32 v67, v70, v58
	v_lshrrev_b32_e32 v70, 16, v11
	v_mul_f16_sdwa v10, v91, v59 dst_sel:DWORD dst_unused:UNUSED_PAD src0_sel:DWORD src1_sel:WORD_1
	v_mul_f16_sdwa v56, v92, v61 dst_sel:DWORD dst_unused:UNUSED_PAD src0_sel:DWORD src1_sel:WORD_1
	;; [unrolled: 1-line block ×3, first 2 shown]
	v_fmac_f16_e32 v10, v9, v59
	v_fmac_f16_e32 v56, v69, v61
	v_mul_f16_sdwa v9, v69, v61 dst_sel:DWORD dst_unused:UNUSED_PAD src0_sel:DWORD src1_sel:WORD_1
	v_lshrrev_b32_e32 v69, 16, v12
	v_fma_f16 v58, v91, v59, -v58
	v_mul_f16_sdwa v91, v12, v60 dst_sel:DWORD dst_unused:UNUSED_PAD src0_sel:DWORD src1_sel:WORD_1
	v_mul_f16_sdwa v94, v70, v63 dst_sel:DWORD dst_unused:UNUSED_PAD src0_sel:DWORD src1_sel:WORD_1
	v_lshrrev_b32_e32 v59, 16, v66
	v_mul_f16_sdwa v93, v69, v60 dst_sel:DWORD dst_unused:UNUSED_PAD src0_sel:DWORD src1_sel:WORD_1
	v_fma_f16 v9, v92, v61, -v9
	v_fma_f16 v69, v69, v60, -v91
	v_fmac_f16_e32 v94, v11, v63
	v_mul_f16_sdwa v11, v11, v63 dst_sel:DWORD dst_unused:UNUSED_PAD src0_sel:DWORD src1_sel:WORD_1
	v_fmac_f16_e32 v93, v12, v60
	v_lshrrev_b32_e32 v60, 16, v13
	v_mul_f16_sdwa v61, v59, v64 dst_sel:DWORD dst_unused:UNUSED_PAD src0_sel:DWORD src1_sel:WORD_1
	v_lshrrev_b32_e32 v12, 16, v14
	v_fma_f16 v11, v70, v63, -v11
	v_sub_f16_e32 v70, v13, v77
	v_sub_f16_e32 v77, v60, v79
	;; [unrolled: 1-line block ×4, first 2 shown]
	v_fmac_f16_e32 v61, v66, v64
	v_mul_f16_sdwa v66, v66, v64 dst_sel:DWORD dst_unused:UNUSED_PAD src0_sel:DWORD src1_sel:WORD_1
	v_mul_f16_sdwa v63, v62, v14 dst_sel:DWORD dst_unused:UNUSED_PAD src0_sel:WORD_1 src1_sel:DWORD
	v_mul_f16_sdwa v81, v62, v12 dst_sel:DWORD dst_unused:UNUSED_PAD src0_sel:WORD_1 src1_sel:DWORD
	v_fma_f16 v13, v13, 2.0, -v70
	v_fma_f16 v60, v60, 2.0, -v77
	;; [unrolled: 1-line block ×4, first 2 shown]
	v_fma_f16 v59, v59, v64, -v66
	v_fma_f16 v12, v62, v12, -v63
	v_add_f16_e32 v66, v70, v80
	v_sub_f16_e32 v63, v13, v76
	v_sub_f16_e32 v64, v60, v82
	;; [unrolled: 1-line block ×3, first 2 shown]
	v_fmac_f16_e32 v81, v62, v14
	v_lshrrev_b32_e32 v14, 16, v75
	v_fma_f16 v13, v13, 2.0, -v63
	v_fma_f16 v60, v60, 2.0, -v64
	;; [unrolled: 1-line block ×4, first 2 shown]
	v_sub_f16_e32 v62, v75, v94
	v_sub_f16_e32 v11, v14, v11
	;; [unrolled: 1-line block ×4, first 2 shown]
	v_pack_b32_f16 v13, v13, v60
	v_pack_b32_f16 v60, v70, v77
	v_fma_f16 v70, v75, 2.0, -v62
	v_fma_f16 v14, v14, 2.0, -v11
	;; [unrolled: 1-line block ×4, first 2 shown]
	v_add_f16_e32 v59, v62, v59
	v_sub_f16_e32 v61, v11, v61
	v_cndmask_b32_e64 v79, 0, 0x640, s0
	v_pack_b32_f16 v63, v63, v64
	v_sub_f16_e32 v64, v70, v75
	v_sub_f16_e32 v12, v14, v12
	v_fma_f16 v62, v62, 2.0, -v59
	v_fma_f16 v11, v11, 2.0, -v61
	v_add3_u32 v5, 0, v79, v5
	v_fma_f16 v70, v70, 2.0, -v64
	v_fma_f16 v14, v14, 2.0, -v12
	v_pack_b32_f16 v66, v66, v76
	v_pack_b32_f16 v11, v62, v11
	v_lshrrev_b32_e32 v62, 16, v65
	v_add_nc_u32_e32 v75, 0x200, v5
	v_pack_b32_f16 v14, v70, v14
	ds_write2_b32 v5, v13, v60 offset1:100
	ds_write2_b32 v75, v63, v66 offset0:72 offset1:172
	ds_write2_b32 v43, v14, v11 offset1:100
	v_sub_f16_e32 v5, v65, v93
	v_sub_f16_e32 v11, v62, v69
	v_sub_f16_e32 v13, v10, v56
	v_sub_f16_e32 v9, v58, v9
	v_pack_b32_f16 v12, v64, v12
	v_fma_f16 v14, v65, 2.0, -v5
	v_fma_f16 v56, v62, 2.0, -v11
	;; [unrolled: 1-line block ×4, first 2 shown]
	v_add_f16_e32 v9, v5, v9
	v_sub_f16_e32 v13, v11, v13
	v_pack_b32_f16 v59, v59, v61
	v_add_nc_u32_e32 v43, 0x200, v43
	v_mul_u32_u24_e32 v60, 0x640, v71
	v_sub_f16_e32 v10, v14, v10
	v_sub_f16_e32 v58, v56, v58
	v_fma_f16 v5, v5, 2.0, -v9
	v_fma_f16 v11, v11, 2.0, -v13
	ds_write2_b32 v43, v12, v59 offset0:72 offset1:172
	v_fma_f16 v14, v14, 2.0, -v10
	v_fma_f16 v56, v56, 2.0, -v58
	v_add3_u32 v12, 0, v60, v15
	v_lshrrev_b32_e32 v15, 16, v73
	v_sub_f16_e32 v43, v73, v89
	v_pack_b32_f16 v5, v5, v11
	v_sub_f16_e32 v11, v85, v67
	v_pack_b32_f16 v14, v14, v56
	v_sub_f16_e32 v56, v15, v57
	v_fma_f16 v57, v73, 2.0, -v43
	v_pack_b32_f16 v10, v10, v58
	v_fma_f16 v59, v85, 2.0, -v11
	v_pack_b32_f16 v9, v9, v13
	v_add_nc_u32_e32 v13, 0x200, v12
	v_sub_f16_e32 v58, v68, v90
	ds_write2_b32 v12, v14, v5 offset1:100
	ds_write2_b32 v13, v10, v9 offset0:72 offset1:172
	v_sub_f16_e32 v59, v57, v59
	v_lshrrev_b32_e32 v5, 16, v74
	v_fma_f16 v15, v15, 2.0, -v56
	v_fma_f16 v60, v68, 2.0, -v58
	v_add_f16_e32 v12, v43, v58
	v_fma_f16 v10, v57, 2.0, -v59
	v_sub_f16_e32 v13, v74, v88
	v_sub_f16_e32 v14, v5, v87
	;; [unrolled: 1-line block ×5, first 2 shown]
	v_fma_f16 v60, v74, 2.0, -v13
	v_fma_f16 v5, v5, 2.0, -v14
	v_fma_f16 v61, v84, 2.0, -v57
	v_fma_f16 v62, v83, 2.0, -v58
	v_sub_f16_e32 v11, v56, v11
	v_add_f16_e32 v58, v13, v58
	v_sub_f16_e32 v57, v14, v57
	v_sub_f16_e32 v61, v60, v61
	;; [unrolled: 1-line block ×3, first 2 shown]
	v_fma_f16 v15, v15, 2.0, -v9
	v_fma_f16 v43, v43, 2.0, -v12
	;; [unrolled: 1-line block ×7, first 2 shown]
	v_pack_b32_f16 v8, v10, v15
	v_pack_b32_f16 v6, v43, v56
	;; [unrolled: 1-line block ×5, first 2 shown]
	v_mul_u32_u24_e32 v14, 3, v16
	v_pack_b32_f16 v10, v12, v11
	v_add_nc_u32_e32 v11, 0x200, v7
	v_add_nc_u32_e32 v15, 0x200, v0
	ds_write2_b32 v7, v8, v6 offset1:100
	ds_write2_b32 v11, v9, v10 offset0:72 offset1:172
	ds_write2_b32 v0, v2, v5 offset1:100
	v_lshlrev_b32_e32 v0, 2, v14
	v_pack_b32_f16 v12, v61, v62
	v_pack_b32_f16 v13, v58, v57
	v_add_nc_u32_e32 v11, 0xffffffb0, v16
	v_add_co_u32 v2, s0, s8, v0
	ds_write2_b32 v15, v12, v13 offset0:72 offset1:172
	s_waitcnt lgkmcnt(0)
	s_barrier
	buffer_gl0_inv
	global_load_dwordx3 v[5:7], v0, s[8:9] offset:1560
	v_add_co_ci_u32_e64 v12, null, s9, 0, s0
	v_add_co_u32 v8, s0, 0x1000, v2
	v_add_co_ci_u32_e64 v9, s0, 0, v12, s0
	v_cmp_gt_u32_e64 s0, 0x50, v16
	global_load_dwordx3 v[8:10], v[8:9], off offset:344
	v_mul_i32_i24_e32 v0, 3, v24
	v_cndmask_b32_e64 v43, v11, v36, s0
	v_add_co_u32 v11, s0, 0x800, v2
	v_add_co_ci_u32_e64 v12, s0, 0, v12, s0
	v_lshlrev_b64 v[14:15], 2, v[0:1]
	v_mul_i32_i24_e32 v0, 3, v43
	global_load_dwordx3 v[11:13], v[11:12], off offset:472
	v_lshlrev_b64 v[0:1], 2, v[0:1]
	v_add_co_u32 v0, s0, s8, v0
	v_add_co_ci_u32_e64 v1, s0, s9, v1, s0
	v_add_co_u32 v14, s0, s8, v14
	v_add_co_ci_u32_e64 v15, s0, s9, v15, s0
	global_load_dwordx3 v[0:2], v[0:1], off offset:1560
	v_cmp_lt_u32_e64 s0, 0x4f, v16
	global_load_dwordx3 v[56:58], v[14:15], off offset:1560
	ds_read_b32 v63, v50
	ds_read2_b32 v[14:15], v3 offset0:32 offset1:192
	ds_read2_b32 v[59:60], v52 offset0:32 offset1:192
	ds_read_b32 v64, v51
	ds_read_b32 v65, v49
	;; [unrolled: 1-line block ×3, first 2 shown]
	ds_read_b32 v67, v44 offset:12160
	ds_read2_b32 v[61:62], v53 offset0:32 offset1:192
	s_waitcnt lgkmcnt(7)
	v_lshrrev_b32_e32 v3, 16, v63
	s_waitcnt lgkmcnt(6)
	v_lshrrev_b32_e32 v68, 16, v15
	;; [unrolled: 2-line block ×4, first 2 shown]
	s_waitcnt vmcnt(4)
	v_mul_f16_sdwa v69, v5, v3 dst_sel:DWORD dst_unused:UNUSED_PAD src0_sel:WORD_1 src1_sel:DWORD
	v_mul_f16_sdwa v71, v5, v63 dst_sel:DWORD dst_unused:UNUSED_PAD src0_sel:WORD_1 src1_sel:DWORD
	;; [unrolled: 1-line block ×5, first 2 shown]
	v_fmac_f16_e32 v69, v5, v63
	v_lshrrev_b32_e32 v63, 16, v14
	v_fma_f16 v71, v5, v3, -v71
	ds_read2_b32 v[3:4], v4 offset0:32 offset1:192
	v_mul_f16_sdwa v75, v7, v70 dst_sel:DWORD dst_unused:UNUSED_PAD src0_sel:WORD_1 src1_sel:DWORD
	v_fma_f16 v68, v6, v68, -v72
	s_waitcnt vmcnt(3)
	v_mul_f16_sdwa v72, v63, v8 dst_sel:DWORD dst_unused:UNUSED_PAD src0_sel:DWORD src1_sel:WORD_1
	v_fma_f16 v70, v7, v70, -v73
	ds_read_b32 v73, v47
	v_lshrrev_b32_e32 v76, 16, v67
	v_fmac_f16_e32 v74, v6, v15
	ds_read2_b32 v[5:6], v55 offset0:32 offset1:192
	v_fmac_f16_e32 v75, v7, v59
	v_fmac_f16_e32 v72, v14, v8
	v_mul_f16_sdwa v7, v14, v8 dst_sel:DWORD dst_unused:UNUSED_PAD src0_sel:DWORD src1_sel:WORD_1
	v_mul_f16_sdwa v14, v76, v10 dst_sel:DWORD dst_unused:UNUSED_PAD src0_sel:DWORD src1_sel:WORD_1
	;; [unrolled: 1-line block ×3, first 2 shown]
	v_lshrrev_b32_e32 v59, 16, v62
	v_mul_f16_sdwa v77, v62, v9 dst_sel:DWORD dst_unused:UNUSED_PAD src0_sel:DWORD src1_sel:WORD_1
	v_fma_f16 v63, v63, v8, -v7
	v_fmac_f16_e32 v14, v67, v10
	v_fma_f16 v15, v76, v10, -v15
	s_waitcnt vmcnt(2)
	v_mul_f16_sdwa v76, v78, v12 dst_sel:DWORD dst_unused:UNUSED_PAD src0_sel:DWORD src1_sel:WORD_1
	v_fma_f16 v67, v59, v9, -v77
	v_mul_f16_sdwa v59, v59, v9 dst_sel:DWORD dst_unused:UNUSED_PAD src0_sel:DWORD src1_sel:WORD_1
	v_mul_f16_sdwa v10, v61, v12 dst_sel:DWORD dst_unused:UNUSED_PAD src0_sel:DWORD src1_sel:WORD_1
	ds_read2_b32 v[7:8], v54 offset0:32 offset1:192
	s_waitcnt lgkmcnt(3)
	v_lshrrev_b32_e32 v77, 16, v4
	v_mul_f16_sdwa v79, v4, v11 dst_sel:DWORD dst_unused:UNUSED_PAD src0_sel:DWORD src1_sel:WORD_1
	v_fmac_f16_e32 v59, v62, v9
	v_fmac_f16_e32 v76, v61, v12
	v_fma_f16 v12, v78, v12, -v10
	ds_read2st64_b32 v[9:10], v44 offset1:15
	v_fma_f16 v61, v77, v11, -v79
	s_waitcnt lgkmcnt(2)
	v_lshrrev_b32_e32 v62, 16, v6
	v_lshrrev_b32_e32 v78, 16, v3
	v_mul_f16_sdwa v79, v6, v13 dst_sel:DWORD dst_unused:UNUSED_PAD src0_sel:DWORD src1_sel:WORD_1
	v_lshrrev_b32_e32 v80, 16, v5
	v_mul_f16_sdwa v77, v77, v11 dst_sel:DWORD dst_unused:UNUSED_PAD src0_sel:DWORD src1_sel:WORD_1
	v_mul_f16_sdwa v81, v62, v13 dst_sel:DWORD dst_unused:UNUSED_PAD src0_sel:DWORD src1_sel:WORD_1
	s_waitcnt vmcnt(1)
	v_mul_f16_sdwa v82, v78, v0 dst_sel:DWORD dst_unused:UNUSED_PAD src0_sel:DWORD src1_sel:WORD_1
	v_fma_f16 v62, v62, v13, -v79
	v_mul_f16_sdwa v79, v80, v2 dst_sel:DWORD dst_unused:UNUSED_PAD src0_sel:DWORD src1_sel:WORD_1
	v_fmac_f16_e32 v77, v4, v11
	v_mul_f16_sdwa v4, v5, v2 dst_sel:DWORD dst_unused:UNUSED_PAD src0_sel:DWORD src1_sel:WORD_1
	v_fmac_f16_e32 v82, v3, v0
	;; [unrolled: 2-line block ×3, first 2 shown]
	s_waitcnt lgkmcnt(1)
	v_lshrrev_b32_e32 v5, 16, v8
	v_mul_f16_sdwa v11, v8, v1 dst_sel:DWORD dst_unused:UNUSED_PAD src0_sel:DWORD src1_sel:WORD_1
	v_fmac_f16_e32 v81, v6, v13
	v_fma_f16 v0, v78, v0, -v3
	v_lshrrev_b32_e32 v6, 16, v7
	v_mul_f16_sdwa v3, v5, v1 dst_sel:DWORD dst_unused:UNUSED_PAD src0_sel:DWORD src1_sel:WORD_1
	v_fma_f16 v5, v5, v1, -v11
	s_waitcnt lgkmcnt(0)
	v_lshrrev_b32_e32 v11, 16, v9
	v_lshrrev_b32_e32 v13, 16, v60
	v_sub_f16_e32 v70, v71, v70
	v_fmac_f16_e32 v3, v8, v1
	v_sub_f16_e32 v1, v9, v74
	v_sub_f16_e32 v8, v11, v68
	;; [unrolled: 1-line block ×3, first 2 shown]
	v_fma_f16 v2, v80, v2, -v4
	s_waitcnt vmcnt(0)
	v_mul_f16_sdwa v4, v6, v57 dst_sel:DWORD dst_unused:UNUSED_PAD src0_sel:DWORD src1_sel:WORD_1
	v_mul_f16_sdwa v74, v13, v58 dst_sel:DWORD dst_unused:UNUSED_PAD src0_sel:DWORD src1_sel:WORD_1
	v_fma_f16 v9, v9, 2.0, -v1
	v_fma_f16 v11, v11, 2.0, -v8
	;; [unrolled: 1-line block ×4, first 2 shown]
	v_lshrrev_b32_e32 v75, 16, v10
	v_fmac_f16_e32 v4, v7, v57
	v_mul_f16_sdwa v7, v7, v57 dst_sel:DWORD dst_unused:UNUSED_PAD src0_sel:DWORD src1_sel:WORD_1
	v_fmac_f16_e32 v74, v60, v58
	v_sub_f16_e32 v69, v9, v69
	v_sub_f16_e32 v71, v11, v71
	v_mul_f16_sdwa v60, v60, v58 dst_sel:DWORD dst_unused:UNUSED_PAD src0_sel:DWORD src1_sel:WORD_1
	v_mul_f16_sdwa v78, v56, v10 dst_sel:DWORD dst_unused:UNUSED_PAD src0_sel:WORD_1 src1_sel:DWORD
	v_mul_f16_sdwa v80, v56, v75 dst_sel:DWORD dst_unused:UNUSED_PAD src0_sel:WORD_1 src1_sel:DWORD
	v_fma_f16 v9, v9, 2.0, -v69
	v_fma_f16 v11, v11, 2.0, -v71
	v_fma_f16 v6, v6, v57, -v7
	v_fma_f16 v7, v13, v58, -v60
	;; [unrolled: 1-line block ×3, first 2 shown]
	v_fmac_f16_e32 v80, v56, v10
	v_lshrrev_b32_e32 v10, 16, v65
	v_pack_b32_f16 v9, v9, v11
	v_sub_f16_e32 v4, v65, v4
	v_sub_f16_e32 v7, v13, v7
	;; [unrolled: 1-line block ×4, first 2 shown]
	s_barrier
	buffer_gl0_inv
	v_add_f16_e32 v56, v1, v70
	v_fma_f16 v57, v65, 2.0, -v4
	v_fma_f16 v10, v10, 2.0, -v6
	;; [unrolled: 1-line block ×4, first 2 shown]
	ds_write_b32 v44, v9
	v_sub_f16_e32 v9, v8, v68
	v_add_f16_e32 v7, v4, v7
	v_sub_f16_e32 v11, v6, v11
	v_fma_f16 v1, v1, 2.0, -v56
	v_sub_f16_e32 v58, v57, v58
	v_sub_f16_e32 v13, v10, v13
	v_fma_f16 v8, v8, 2.0, -v9
	v_fma_f16 v4, v4, 2.0, -v7
	v_fma_f16 v6, v6, 2.0, -v11
	v_fma_f16 v57, v57, 2.0, -v58
	v_fma_f16 v10, v10, 2.0, -v13
	v_pack_b32_f16 v1, v1, v8
	v_pack_b32_f16 v8, v69, v71
	;; [unrolled: 1-line block ×3, first 2 shown]
	v_lshrrev_b32_e32 v6, 16, v73
	v_pack_b32_f16 v9, v56, v9
	v_pack_b32_f16 v10, v57, v10
	ds_write_b32 v44, v1 offset:1600
	ds_write_b32 v44, v8 offset:3200
	;; [unrolled: 1-line block ×3, first 2 shown]
	v_sub_f16_e32 v1, v73, v3
	v_sub_f16_e32 v3, v6, v5
	;; [unrolled: 1-line block ×4, first 2 shown]
	ds_write_b32 v49, v10
	v_fma_f16 v8, v73, 2.0, -v1
	v_fma_f16 v6, v6, 2.0, -v3
	v_fma_f16 v9, v82, 2.0, -v5
	v_fma_f16 v0, v0, 2.0, -v2
	ds_write_b32 v49, v4 offset:1600
	v_cndmask_b32_e64 v4, 0, 0x1900, s0
	v_lshlrev_b32_e32 v10, 2, v43
	v_sub_f16_e32 v9, v8, v9
	v_sub_f16_e32 v0, v6, v0
	v_add_f16_e32 v2, v1, v2
	v_sub_f16_e32 v5, v3, v5
	v_add3_u32 v4, 0, v4, v10
	v_lshrrev_b32_e32 v10, 16, v64
	v_fma_f16 v8, v8, 2.0, -v9
	v_fma_f16 v6, v6, 2.0, -v0
	v_sub_f16_e32 v57, v61, v62
	v_fma_f16 v1, v1, 2.0, -v2
	v_sub_f16_e32 v12, v10, v12
	v_fma_f16 v3, v3, 2.0, -v5
	v_pack_b32_f16 v6, v8, v6
	v_fma_f16 v60, v61, 2.0, -v57
	v_lshrrev_b32_e32 v8, 16, v66
	v_fma_f16 v10, v10, 2.0, -v12
	v_pack_b32_f16 v7, v7, v11
	v_sub_f16_e32 v11, v64, v76
	v_sub_f16_e32 v43, v77, v81
	v_pack_b32_f16 v1, v1, v3
	v_sub_f16_e32 v3, v10, v60
	v_sub_f16_e32 v59, v66, v59
	;; [unrolled: 1-line block ×5, first 2 shown]
	v_pack_b32_f16 v13, v58, v13
	v_fma_f16 v56, v64, 2.0, -v11
	v_fma_f16 v58, v77, 2.0, -v43
	;; [unrolled: 1-line block ×6, first 2 shown]
	v_sub_f16_e32 v58, v56, v58
	v_add_f16_e32 v57, v11, v57
	v_sub_f16_e32 v43, v12, v43
	v_sub_f16_e32 v62, v61, v62
	;; [unrolled: 1-line block ×3, first 2 shown]
	v_add_f16_e32 v15, v59, v15
	v_sub_f16_e32 v14, v60, v14
	v_fma_f16 v56, v56, 2.0, -v58
	v_fma_f16 v10, v10, 2.0, -v3
	;; [unrolled: 1-line block ×8, first 2 shown]
	v_pack_b32_f16 v0, v9, v0
	ds_write_b32 v49, v13 offset:3200
	ds_write_b32 v49, v7 offset:4800
	ds_write_b32 v4, v6
	ds_write_b32 v4, v1 offset:1600
	ds_write_b32 v4, v0 offset:3200
	v_pack_b32_f16 v0, v2, v5
	v_pack_b32_f16 v1, v56, v10
	;; [unrolled: 1-line block ×3, first 2 shown]
	v_add_nc_u32_e32 v7, 0x1a00, v44
	v_pack_b32_f16 v2, v11, v12
	v_pack_b32_f16 v8, v59, v60
	;; [unrolled: 1-line block ×4, first 2 shown]
	v_add_nc_u32_e32 v10, 0x2600, v44
	v_pack_b32_f16 v5, v57, v43
	v_pack_b32_f16 v11, v15, v14
	ds_write_b32 v4, v0 offset:4800
	ds_write2_b32 v7, v1, v6 offset0:16 offset1:176
	ds_write2_b32 v53, v2, v8 offset0:32 offset1:192
	;; [unrolled: 1-line block ×4, first 2 shown]
	v_lshlrev_b64 v[42:43], 2, v[24:25]
	v_lshlrev_b64 v[14:15], 2, v[36:37]
	v_lshlrev_b64 v[8:9], 2, v[32:33]
	v_lshlrev_b64 v[4:5], 2, v[34:35]
	v_lshlrev_b64 v[2:3], 2, v[30:31]
	v_lshlrev_b64 v[12:13], 2, v[38:39]
	v_add_co_u32 v25, s0, s8, v42
	v_add_co_ci_u32_e64 v36, s0, s9, v43, s0
	v_add_co_u32 v32, s0, s8, v14
	v_add_co_ci_u32_e64 v33, s0, s9, v15, s0
	;; [unrolled: 2-line block ×3, first 2 shown]
	s_waitcnt lgkmcnt(0)
	v_add_co_u32 v0, s0, 0x1800, v0
	v_add_co_ci_u32_e64 v1, s0, 0, v1, s0
	v_add_co_u32 v6, s0, s8, v4
	v_add_co_ci_u32_e64 v7, s0, s9, v5, s0
	;; [unrolled: 2-line block ×6, first 2 shown]
	s_barrier
	buffer_gl0_inv
	s_clause 0x2
	global_load_dword v56, v[0:1], off offset:216
	global_load_dword v57, v[6:7], off offset:216
	;; [unrolled: 1-line block ×3, first 2 shown]
	v_lshlrev_b64 v[0:1], 2, v[26:27]
	v_add_co_u32 v6, s0, 0x1800, v25
	v_add_co_ci_u32_e64 v7, s0, 0, v36, s0
	v_add_co_u32 v30, s0, 0x1800, v30
	v_add_co_ci_u32_e64 v31, s0, 0, v31, s0
	v_add_co_u32 v25, s0, s8, v0
	v_lshlrev_b64 v[10:11], 2, v[40:41]
	v_add_co_ci_u32_e64 v27, s0, s9, v1, s0
	s_clause 0x1
	global_load_dword v41, v[6:7], off offset:216
	global_load_dword v59, v[30:31], off offset:216
	v_add_co_u32 v31, s0, 0x1800, v32
	v_add_co_ci_u32_e64 v32, s0, 0, v33, s0
	v_add_co_u32 v35, s0, s8, v10
	v_add_co_ci_u32_e64 v36, s0, s9, v11, s0
	v_add_co_u32 v33, s0, 0x1800, v25
	v_lshlrev_b64 v[6:7], 2, v[28:29]
	v_lshlrev_b64 v[29:30], 2, v[16:17]
	v_add_co_ci_u32_e64 v34, s0, 0, v27, s0
	v_add_co_u32 v35, s0, 0x1800, v35
	v_add_co_ci_u32_e64 v36, s0, 0, v36, s0
	v_add_co_u32 v17, s0, s8, v29
	;; [unrolled: 2-line block ×5, first 2 shown]
	v_add_co_ci_u32_e64 v40, s0, 0, v40, s0
	s_clause 0x4
	global_load_dword v60, v[31:32], off offset:216
	global_load_dword v61, v[33:34], off offset:216
	;; [unrolled: 1-line block ×5, first 2 shown]
	ds_read2_b32 v[31:32], v55 offset0:32 offset1:192
	ds_read_b32 v40, v44 offset:12160
	ds_read2_b32 v[33:34], v52 offset0:32 offset1:192
	ds_read2_b32 v[35:36], v53 offset0:32 offset1:192
	v_lshl_add_u32 v17, v28, 2, 0
	ds_read2_b32 v[27:28], v54 offset0:32 offset1:192
	v_lshl_add_u32 v25, v26, 2, 0
	ds_read2st64_b32 v[37:38], v44 offset1:25
	ds_read_b32 v26, v17
	ds_read_b32 v52, v49
	;; [unrolled: 1-line block ×9, first 2 shown]
	s_waitcnt vmcnt(0) lgkmcnt(0)
	s_barrier
	buffer_gl0_inv
	v_lshrrev_b32_e32 v68, 16, v32
	v_lshrrev_b32_e32 v69, 16, v40
	v_pk_mul_f16 v72, v36, v56 op_sel:[0,1]
	v_pk_mul_f16 v71, v33, v57 op_sel:[0,1]
	;; [unrolled: 1-line block ×3, first 2 shown]
	v_pk_fma_f16 v82, v34, v58, v70 op_sel:[0,0,1] op_sel_hi:[1,1,0]
	v_pk_fma_f16 v34, v34, v58, v70 op_sel:[0,0,1] op_sel_hi:[1,0,0] neg_lo:[0,0,1] neg_hi:[0,0,1]
	v_pk_fma_f16 v58, v33, v57, v71 op_sel:[0,0,1] op_sel_hi:[1,1,0]
	v_pk_fma_f16 v33, v33, v57, v71 op_sel:[0,0,1] op_sel_hi:[1,0,0] neg_lo:[0,0,1] neg_hi:[0,0,1]
	;; [unrolled: 2-line block ×3, first 2 shown]
	v_bfi_b32 v34, 0xffff, v82, v34
	v_bfi_b32 v33, 0xffff, v58, v33
	v_pk_mul_f16 v74, v41, v27 op_sel:[0,1]
	v_pk_mul_f16 v73, v59, v35 op_sel:[0,1]
	v_bfi_b32 v36, 0xffff, v57, v36
	v_pk_add_f16 v34, v53, v34 neg_lo:[0,1] neg_hi:[0,1]
	v_pk_add_f16 v33, v55, v33 neg_lo:[0,1] neg_hi:[0,1]
	v_pk_fma_f16 v56, v59, v35, v73 op_sel:[0,0,1] op_sel_hi:[1,1,0]
	v_pk_fma_f16 v35, v59, v35, v73 op_sel:[0,0,1] op_sel_hi:[1,0,0] neg_lo:[1,0,0] neg_hi:[1,0,0]
	v_pk_fma_f16 v59, v41, v27, v74 op_sel:[0,0,1] op_sel_hi:[1,1,0]
	v_pk_fma_f16 v27, v41, v27, v74 op_sel:[0,0,1] op_sel_hi:[1,0,0] neg_lo:[1,0,0] neg_hi:[1,0,0]
	v_pk_add_f16 v36, v66, v36 neg_lo:[0,1] neg_hi:[0,1]
	v_pk_fma_f16 v55, v55, 2.0, v33 op_sel_hi:[1,0,1] neg_lo:[0,0,1] neg_hi:[0,0,1]
	v_bfi_b32 v35, 0xffff, v56, v35
	v_lshrrev_b32_e32 v56, 16, v26
	v_bfi_b32 v27, 0xffff, v59, v27
	v_pk_fma_f16 v53, v53, 2.0, v34 op_sel_hi:[1,0,1] neg_lo:[0,0,1] neg_hi:[0,0,1]
	v_pk_fma_f16 v59, v66, 2.0, v36 op_sel_hi:[1,0,1] neg_lo:[0,0,1] neg_hi:[0,0,1]
	v_pk_add_f16 v35, v65, v35 neg_lo:[0,1] neg_hi:[0,1]
	v_pk_add_f16 v27, v52, v27 neg_lo:[0,1] neg_hi:[0,1]
	v_pk_fma_f16 v52, v52, 2.0, v27 op_sel_hi:[1,0,1] neg_lo:[0,0,1] neg_hi:[0,0,1]
	v_pk_mul_f16 v75, v60, v28 op_sel:[0,1]
	v_pk_mul_f16 v76, v31, v61 op_sel:[0,1]
	v_mul_f16_sdwa v77, v68, v62 dst_sel:DWORD dst_unused:UNUSED_PAD src0_sel:DWORD src1_sel:WORD_1
	v_pk_mul_f16 v81, v63, v38 op_sel:[0,1]
	v_mul_f16_sdwa v78, v32, v62 dst_sel:DWORD dst_unused:UNUSED_PAD src0_sel:DWORD src1_sel:WORD_1
	v_mul_f16_sdwa v79, v69, v39 dst_sel:DWORD dst_unused:UNUSED_PAD src0_sel:DWORD src1_sel:WORD_1
	v_mul_f16_sdwa v80, v40, v39 dst_sel:DWORD dst_unused:UNUSED_PAD src0_sel:DWORD src1_sel:WORD_1
	v_fmac_f16_e32 v77, v32, v62
	v_pk_fma_f16 v41, v63, v38, v81 op_sel:[0,0,1] op_sel_hi:[1,1,0]
	v_pk_fma_f16 v38, v63, v38, v81 op_sel:[0,0,1] op_sel_hi:[1,0,0] neg_lo:[1,0,0] neg_hi:[1,0,0]
	v_pk_fma_f16 v63, v60, v28, v75 op_sel:[0,0,1] op_sel_hi:[1,1,0]
	v_pk_fma_f16 v28, v60, v28, v75 op_sel:[0,0,1] op_sel_hi:[1,0,0] neg_lo:[1,0,0] neg_hi:[1,0,0]
	;; [unrolled: 2-line block ×3, first 2 shown]
	v_bfi_b32 v38, 0xffff, v41, v38
	v_fma_f16 v32, v68, v62, -v78
	v_fmac_f16_e32 v79, v40, v39
	v_lshrrev_b32_e32 v40, 16, v54
	v_fma_f16 v39, v69, v39, -v80
	v_bfi_b32 v28, 0xffff, v63, v28
	v_bfi_b32 v31, 0xffff, v60, v31
	v_pk_add_f16 v38, v37, v38 neg_lo:[0,1] neg_hi:[0,1]
	v_sub_f16_e32 v41, v54, v77
	v_sub_f16_e32 v32, v40, v32
	;; [unrolled: 1-line block ×4, first 2 shown]
	v_pk_add_f16 v28, v67, v28 neg_lo:[0,1] neg_hi:[0,1]
	v_pk_add_f16 v31, v64, v31 neg_lo:[0,1] neg_hi:[0,1]
	v_pk_fma_f16 v37, v37, 2.0, v38 op_sel_hi:[1,0,1] neg_lo:[0,0,1] neg_hi:[0,0,1]
	v_fma_f16 v54, v54, 2.0, -v41
	v_fma_f16 v40, v40, 2.0, -v32
	;; [unrolled: 1-line block ×4, first 2 shown]
	v_pk_fma_f16 v61, v67, 2.0, v28 op_sel_hi:[1,0,1] neg_lo:[0,0,1] neg_hi:[0,0,1]
	v_pk_fma_f16 v60, v65, 2.0, v35 op_sel_hi:[1,0,1] neg_lo:[0,0,1] neg_hi:[0,0,1]
	;; [unrolled: 1-line block ×3, first 2 shown]
	ds_write2st64_b32 v44, v37, v38 offset1:25
	ds_write2st64_b32 v49, v52, v27 offset1:25
	;; [unrolled: 1-line block ×5, first 2 shown]
	v_pack_b32_f16 v27, v54, v40
	v_pack_b32_f16 v28, v41, v32
	;; [unrolled: 1-line block ×4, first 2 shown]
	ds_write2st64_b32 v50, v55, v33 offset1:25
	ds_write2st64_b32 v48, v53, v34 offset1:25
	;; [unrolled: 1-line block ×5, first 2 shown]
	s_waitcnt lgkmcnt(0)
	s_barrier
	buffer_gl0_inv
	ds_read_b32 v31, v44
                                        ; implicit-def: $vgpr28
                                        ; implicit-def: $vgpr26
                                        ; implicit-def: $vgpr27
	v_cmpx_ne_u32_e32 0, v16
	s_xor_b32 s5, exec_lo, s5
	s_cbranch_execz .LBB0_15
; %bb.14:
	v_add_co_u32 v26, s0, s1, v29
	v_add_co_ci_u32_e64 v27, s0, s4, v30, s0
	global_load_dword v26, v[26:27], off
	ds_read_b32 v27, v19 offset:12800
	s_waitcnt lgkmcnt(0)
	v_pk_add_f16 v28, v31, v27 neg_lo:[0,1] neg_hi:[0,1]
	v_pk_add_f16 v27, v27, v31
	v_bfi_b32 v29, 0xffff, v28, v27
	v_bfi_b32 v27, 0xffff, v27, v28
	v_pk_mul_f16 v29, v29, 0.5 op_sel_hi:[1,0]
	v_pk_mul_f16 v30, v27, 0.5 op_sel_hi:[1,0]
	s_waitcnt vmcnt(0)
	v_pk_mul_f16 v28, v26, v29 op_sel:[1,0]
	v_pk_mul_f16 v29, v26, v29 op_sel_hi:[0,1]
	v_pk_fma_f16 v26, v27, 0.5, v28 op_sel_hi:[1,0,1]
	v_sub_f16_e32 v27, v30, v28
	v_sub_f16_sdwa v30, v28, v30 dst_sel:DWORD dst_unused:UNUSED_PAD src0_sel:WORD_1 src1_sel:WORD_1
	v_pk_add_f16 v31, v26, v29 op_sel:[0,1] op_sel_hi:[1,0]
	v_pk_add_f16 v32, v26, v29 op_sel:[0,1] op_sel_hi:[1,0] neg_lo:[0,1] neg_hi:[0,1]
	v_sub_f16_sdwa v26, v27, v29 dst_sel:DWORD dst_unused:UNUSED_PAD src0_sel:DWORD src1_sel:WORD_1
	v_sub_f16_e32 v27, v30, v29
	v_bfi_b32 v28, 0xffff, v31, v32
                                        ; implicit-def: $vgpr31
.LBB0_15:
	s_or_saveexec_b32 s0, s5
	v_mul_i32_i24_e32 v24, 0xffffffdc, v24
	s_xor_b32 exec_lo, exec_lo, s0
	s_cbranch_execz .LBB0_17
; %bb.16:
	v_mov_b32_e32 v27, 0
	s_waitcnt lgkmcnt(0)
	v_alignbit_b32 v26, s0, v31, 16
	ds_read_u16 v28, v27 offset:6402
	v_pk_add_f16 v29, v26, v31
	v_sub_f16_sdwa v26, v31, v31 dst_sel:DWORD dst_unused:UNUSED_PAD src0_sel:DWORD src1_sel:WORD_1
	s_waitcnt lgkmcnt(0)
	v_xor_b32_e32 v30, 0x8000, v28
	v_pack_b32_f16 v28, v29, 0
	ds_write_b16 v27, v30 offset:6402
.LBB0_17:
	s_or_b32 exec_lo, exec_lo, s0
	v_add_co_u32 v29, s0, s1, v42
	v_add_co_ci_u32_e64 v30, s0, s4, v43, s0
	v_add_co_u32 v14, s0, s1, v14
	v_add_co_ci_u32_e64 v15, s0, s4, v15, s0
	global_load_dword v29, v[29:30], off
	v_add_co_u32 v12, s0, s1, v12
	global_load_dword v14, v[14:15], off
	v_add_co_ci_u32_e64 v13, s0, s4, v13, s0
	v_add_co_u32 v8, s0, s1, v8
	v_add_co_ci_u32_e64 v9, s0, s4, v9, s0
	global_load_dword v12, v[12:13], off
	v_add_co_u32 v4, s0, s1, v4
	global_load_dword v8, v[8:9], off
	v_add_co_ci_u32_e64 v5, s0, s4, v5, s0
	v_add_co_u32 v2, s0, s1, v2
	v_add_co_ci_u32_e64 v3, s0, s4, v3, s0
	global_load_dword v4, v[4:5], off
	v_add_nc_u32_e32 v5, v45, v24
	ds_write_b16 v19, v27 offset:12802
	ds_write_b32 v44, v28
	ds_write_b16 v19, v26 offset:12800
	ds_read_b32 v9, v19 offset:12160
	ds_read_b32 v13, v5
	global_load_dword v15, v[2:3], off
	v_add_co_u32 v0, s0, s1, v0
	v_add_co_ci_u32_e64 v1, s0, s4, v1, s0
	s_waitcnt lgkmcnt(0)
	v_pk_add_f16 v2, v13, v9 neg_lo:[0,1] neg_hi:[0,1]
	v_pk_add_f16 v3, v13, v9
	v_bfi_b32 v9, 0xffff, v2, v3
	v_bfi_b32 v2, 0xffff, v3, v2
	v_pk_mul_f16 v3, v9, 0.5 op_sel_hi:[1,0]
	v_pk_mul_f16 v2, v2, 0.5 op_sel_hi:[1,0]
	s_waitcnt vmcnt(5)
	v_pk_fma_f16 v9, v29, v3, v2 op_sel:[1,0,0]
	v_pk_mul_f16 v13, v29, v3 op_sel_hi:[0,1]
	v_pk_fma_f16 v24, v29, v3, v2 op_sel:[1,0,0] neg_lo:[1,0,0] neg_hi:[1,0,0]
	v_pk_fma_f16 v2, v29, v3, v2 op_sel:[1,0,0] neg_lo:[0,0,1] neg_hi:[0,0,1]
	v_pk_add_f16 v3, v9, v13 op_sel:[0,1] op_sel_hi:[1,0]
	v_pk_add_f16 v9, v9, v13 op_sel:[0,1] op_sel_hi:[1,0] neg_lo:[0,1] neg_hi:[0,1]
	v_pk_add_f16 v24, v24, v13 op_sel:[0,1] op_sel_hi:[1,0] neg_lo:[0,1] neg_hi:[0,1]
	;; [unrolled: 1-line block ×3, first 2 shown]
	v_bfi_b32 v3, 0xffff, v3, v9
	v_bfi_b32 v2, 0xffff, v24, v2
	ds_write_b32 v5, v3
	ds_write_b32 v19, v2 offset:12160
	ds_read_b32 v2, v47
	ds_read_b32 v3, v19 offset:11520
	global_load_dword v5, v[0:1], off
	v_add_co_u32 v0, s0, s1, v10
	v_add_co_ci_u32_e64 v1, s0, s4, v11, s0
	s_waitcnt lgkmcnt(0)
	v_pk_add_f16 v9, v2, v3 neg_lo:[0,1] neg_hi:[0,1]
	v_pk_add_f16 v2, v2, v3
	v_bfi_b32 v10, 0xffff, v9, v2
	v_bfi_b32 v9, 0xffff, v2, v9
	v_add_co_u32 v2, s0, s1, v6
	v_add_co_ci_u32_e64 v3, s0, s4, v7, s0
	s_clause 0x1
	global_load_dword v0, v[0:1], off
	global_load_dword v1, v[2:3], off
	v_pk_mul_f16 v6, v10, 0.5 op_sel_hi:[1,0]
	v_pk_mul_f16 v7, v9, 0.5 op_sel_hi:[1,0]
	s_waitcnt vmcnt(7)
	v_pk_mul_f16 v3, v14, v6 op_sel_hi:[0,1]
	v_pk_fma_f16 v2, v14, v6, v7 op_sel:[1,0,0]
	v_pk_fma_f16 v9, v14, v6, v7 op_sel:[1,0,0] neg_lo:[1,0,0] neg_hi:[1,0,0]
	v_pk_fma_f16 v6, v14, v6, v7 op_sel:[1,0,0] neg_lo:[0,0,1] neg_hi:[0,0,1]
	v_pk_add_f16 v7, v2, v3 op_sel:[0,1] op_sel_hi:[1,0]
	v_pk_add_f16 v2, v2, v3 op_sel:[0,1] op_sel_hi:[1,0] neg_lo:[0,1] neg_hi:[0,1]
	v_pk_add_f16 v9, v9, v3 op_sel:[0,1] op_sel_hi:[1,0] neg_lo:[0,1] neg_hi:[0,1]
	v_pk_add_f16 v3, v6, v3 op_sel:[0,1] op_sel_hi:[1,0] neg_lo:[0,1] neg_hi:[0,1]
	v_bfi_b32 v2, 0xffff, v7, v2
	v_bfi_b32 v3, 0xffff, v9, v3
	ds_write_b32 v47, v2
	ds_write_b32 v19, v3 offset:11520
	ds_read_b32 v2, v51
	ds_read_b32 v3, v19 offset:10880
	s_waitcnt lgkmcnt(0)
	v_pk_add_f16 v6, v2, v3 neg_lo:[0,1] neg_hi:[0,1]
	v_pk_add_f16 v2, v2, v3
	v_bfi_b32 v3, 0xffff, v6, v2
	v_bfi_b32 v2, 0xffff, v2, v6
	v_pk_mul_f16 v3, v3, 0.5 op_sel_hi:[1,0]
	v_pk_mul_f16 v2, v2, 0.5 op_sel_hi:[1,0]
	s_waitcnt vmcnt(6)
	v_pk_mul_f16 v7, v12, v3 op_sel_hi:[0,1]
	v_pk_fma_f16 v6, v12, v3, v2 op_sel:[1,0,0]
	v_pk_fma_f16 v9, v12, v3, v2 op_sel:[1,0,0] neg_lo:[1,0,0] neg_hi:[1,0,0]
	v_pk_fma_f16 v2, v12, v3, v2 op_sel:[1,0,0] neg_lo:[0,0,1] neg_hi:[0,0,1]
	v_pk_add_f16 v3, v6, v7 op_sel:[0,1] op_sel_hi:[1,0]
	v_pk_add_f16 v6, v6, v7 op_sel:[0,1] op_sel_hi:[1,0] neg_lo:[0,1] neg_hi:[0,1]
	v_pk_add_f16 v9, v9, v7 op_sel:[0,1] op_sel_hi:[1,0] neg_lo:[0,1] neg_hi:[0,1]
	v_pk_add_f16 v2, v2, v7 op_sel:[0,1] op_sel_hi:[1,0] neg_lo:[0,1] neg_hi:[0,1]
	v_bfi_b32 v3, 0xffff, v3, v6
	v_bfi_b32 v2, 0xffff, v9, v2
	ds_write_b32 v51, v3
	ds_write_b32 v19, v2 offset:10880
	ds_read_b32 v2, v46
	ds_read_b32 v3, v19 offset:10240
	s_waitcnt lgkmcnt(0)
	v_pk_add_f16 v6, v2, v3 neg_lo:[0,1] neg_hi:[0,1]
	v_pk_add_f16 v2, v2, v3
	v_bfi_b32 v3, 0xffff, v6, v2
	v_bfi_b32 v2, 0xffff, v2, v6
	;; [unrolled: 22-line block ×5, first 2 shown]
	v_pk_mul_f16 v3, v3, 0.5 op_sel_hi:[1,0]
	v_pk_mul_f16 v2, v2, 0.5 op_sel_hi:[1,0]
	s_waitcnt vmcnt(2)
	v_pk_fma_f16 v4, v5, v3, v2 op_sel:[1,0,0]
	v_pk_mul_f16 v6, v5, v3 op_sel_hi:[0,1]
	v_pk_fma_f16 v7, v5, v3, v2 op_sel:[1,0,0] neg_lo:[1,0,0] neg_hi:[1,0,0]
	v_pk_fma_f16 v2, v5, v3, v2 op_sel:[1,0,0] neg_lo:[0,0,1] neg_hi:[0,0,1]
	v_pk_add_f16 v3, v4, v6 op_sel:[0,1] op_sel_hi:[1,0]
	v_pk_add_f16 v4, v4, v6 op_sel:[0,1] op_sel_hi:[1,0] neg_lo:[0,1] neg_hi:[0,1]
	v_pk_add_f16 v5, v7, v6 op_sel:[0,1] op_sel_hi:[1,0] neg_lo:[0,1] neg_hi:[0,1]
	;; [unrolled: 1-line block ×3, first 2 shown]
	v_bfi_b32 v3, 0xffff, v3, v4
	v_bfi_b32 v2, 0xffff, v5, v2
	ds_write_b32 v25, v3
	ds_write_b32 v19, v2 offset:8320
	ds_read_b32 v2, v21
	ds_read_b32 v3, v19 offset:7680
	s_waitcnt lgkmcnt(0)
	v_pk_add_f16 v4, v2, v3 neg_lo:[0,1] neg_hi:[0,1]
	v_pk_add_f16 v2, v2, v3
	v_bfi_b32 v3, 0xffff, v4, v2
	v_bfi_b32 v2, 0xffff, v2, v4
	v_pk_mul_f16 v3, v3, 0.5 op_sel_hi:[1,0]
	v_pk_mul_f16 v2, v2, 0.5 op_sel_hi:[1,0]
	s_waitcnt vmcnt(1)
	v_pk_mul_f16 v5, v0, v3 op_sel_hi:[0,1]
	v_pk_fma_f16 v4, v0, v3, v2 op_sel:[1,0,0]
	v_pk_fma_f16 v6, v0, v3, v2 op_sel:[1,0,0] neg_lo:[1,0,0] neg_hi:[1,0,0]
	v_pk_fma_f16 v0, v0, v3, v2 op_sel:[1,0,0] neg_lo:[0,0,1] neg_hi:[0,0,1]
	v_pk_add_f16 v2, v4, v5 op_sel:[0,1] op_sel_hi:[1,0]
	v_pk_add_f16 v3, v4, v5 op_sel:[0,1] op_sel_hi:[1,0] neg_lo:[0,1] neg_hi:[0,1]
	v_pk_add_f16 v4, v6, v5 op_sel:[0,1] op_sel_hi:[1,0] neg_lo:[0,1] neg_hi:[0,1]
	;; [unrolled: 1-line block ×3, first 2 shown]
	v_bfi_b32 v2, 0xffff, v2, v3
	v_bfi_b32 v0, 0xffff, v4, v0
	ds_write_b32 v21, v2
	ds_write_b32 v19, v0 offset:7680
	ds_read_b32 v0, v17
	ds_read_b32 v2, v19 offset:7040
	s_waitcnt lgkmcnt(0)
	v_pk_add_f16 v3, v0, v2 neg_lo:[0,1] neg_hi:[0,1]
	v_pk_add_f16 v0, v0, v2
	v_bfi_b32 v2, 0xffff, v3, v0
	v_bfi_b32 v0, 0xffff, v0, v3
	v_pk_mul_f16 v2, v2, 0.5 op_sel_hi:[1,0]
	v_pk_mul_f16 v0, v0, 0.5 op_sel_hi:[1,0]
	s_waitcnt vmcnt(0)
	v_pk_mul_f16 v4, v1, v2 op_sel_hi:[0,1]
	v_pk_fma_f16 v3, v1, v2, v0 op_sel:[1,0,0]
	v_pk_fma_f16 v5, v1, v2, v0 op_sel:[1,0,0] neg_lo:[1,0,0] neg_hi:[1,0,0]
	v_pk_fma_f16 v0, v1, v2, v0 op_sel:[1,0,0] neg_lo:[0,0,1] neg_hi:[0,0,1]
	v_pk_add_f16 v1, v3, v4 op_sel:[0,1] op_sel_hi:[1,0]
	v_pk_add_f16 v2, v3, v4 op_sel:[0,1] op_sel_hi:[1,0] neg_lo:[0,1] neg_hi:[0,1]
	v_pk_add_f16 v3, v5, v4 op_sel:[0,1] op_sel_hi:[1,0] neg_lo:[0,1] neg_hi:[0,1]
	;; [unrolled: 1-line block ×3, first 2 shown]
	v_bfi_b32 v1, 0xffff, v1, v2
	v_bfi_b32 v0, 0xffff, v3, v0
	ds_write_b32 v17, v1
	ds_write_b32 v19, v0 offset:7040
	s_waitcnt lgkmcnt(0)
	s_barrier
	buffer_gl0_inv
	s_and_saveexec_b32 s0, vcc_lo
	s_cbranch_execz .LBB0_20
; %bb.18:
	ds_read2_b32 v[2:3], v44 offset1:160
	v_mov_b32_e32 v17, 0
	v_add_nc_u32_e32 v0, 0x400, v44
	v_add_nc_u32_e32 v8, 0xa00, v44
	;; [unrolled: 1-line block ×4, first 2 shown]
	v_lshlrev_b64 v[4:5], 2, v[16:17]
	ds_read2_b32 v[6:7], v0 offset0:64 offset1:224
	v_add_co_u32 v0, vcc_lo, s2, v22
	v_add_co_ci_u32_e32 v1, vcc_lo, s3, v23, vcc_lo
	ds_read2_b32 v[8:9], v8 offset1:160
	v_add_co_u32 v4, vcc_lo, v0, v4
	v_add_co_ci_u32_e32 v5, vcc_lo, v1, v5, vcc_lo
	ds_read2_b32 v[10:11], v10 offset0:64 offset1:224
	v_mov_b32_e32 v19, v17
	v_add_nc_u32_e32 v14, 0x1800, v44
	s_waitcnt lgkmcnt(3)
	global_store_dword v[4:5], v2, off
	global_store_dword v[4:5], v3, off offset:640
	ds_read2_b32 v[12:13], v12 offset1:160
	v_add_co_u32 v2, vcc_lo, 0x800, v4
	v_add_co_ci_u32_e32 v3, vcc_lo, 0, v5, vcc_lo
	s_waitcnt lgkmcnt(3)
	global_store_dword v[4:5], v6, off offset:1280
	global_store_dword v[4:5], v7, off offset:1920
	s_waitcnt lgkmcnt(2)
	global_store_dword v[2:3], v8, off offset:512
	global_store_dword v[2:3], v9, off offset:1152
	v_lshlrev_b64 v[6:7], 2, v[18:19]
	v_add_co_u32 v8, vcc_lo, 0x1000, v4
	v_add_co_ci_u32_e32 v9, vcc_lo, 0, v5, vcc_lo
	v_add_nc_u32_e32 v15, 0x1e00, v44
	v_add_co_u32 v6, vcc_lo, v0, v6
	v_add_co_ci_u32_e32 v7, vcc_lo, v1, v7, vcc_lo
	s_waitcnt lgkmcnt(1)
	global_store_dword v[2:3], v10, off offset:1792
	global_store_dword v[8:9], v11, off offset:384
	ds_read2_b32 v[2:3], v14 offset0:64 offset1:224
	v_add_nc_u32_e32 v10, 0x2200, v44
	s_waitcnt lgkmcnt(1)
	global_store_dword v[6:7], v12, off
	ds_read2_b32 v[6:7], v15 offset1:160
	v_add_nc_u32_e32 v12, 0x2800, v44
	v_add_nc_u32_e32 v14, 0x2c00, v44
	v_mov_b32_e32 v21, v17
	global_store_dword v[8:9], v13, off offset:1664
	ds_read2_b32 v[10:11], v10 offset0:64 offset1:224
	ds_read2_b32 v[12:13], v12 offset1:160
	ds_read2_b32 v[14:15], v14 offset0:64 offset1:224
	v_add_co_u32 v8, vcc_lo, 0x1800, v4
	v_lshlrev_b64 v[20:21], 2, v[20:21]
	v_add_co_ci_u32_e32 v9, vcc_lo, 0, v5, vcc_lo
	v_add_co_u32 v18, vcc_lo, 0x2000, v4
	v_add_co_ci_u32_e32 v19, vcc_lo, 0, v5, vcc_lo
	s_waitcnt lgkmcnt(4)
	global_store_dword v[8:9], v2, off offset:256
	global_store_dword v[8:9], v3, off offset:896
	s_waitcnt lgkmcnt(3)
	global_store_dword v[8:9], v6, off offset:1536
	global_store_dword v[18:19], v7, off offset:128
	v_add_co_u32 v2, vcc_lo, v0, v20
	v_add_co_ci_u32_e32 v3, vcc_lo, v1, v21, vcc_lo
	v_add_co_u32 v4, vcc_lo, 0x2800, v4
	v_add_co_ci_u32_e32 v5, vcc_lo, 0, v5, vcc_lo
	v_cmp_eq_u32_e32 vcc_lo, 0x9f, v16
	s_waitcnt lgkmcnt(2)
	global_store_dword v[18:19], v10, off offset:768
	global_store_dword v[18:19], v11, off offset:1408
	s_waitcnt lgkmcnt(1)
	global_store_dword v[2:3], v12, off
	global_store_dword v[4:5], v13, off offset:640
	s_waitcnt lgkmcnt(0)
	global_store_dword v[4:5], v14, off offset:1280
	global_store_dword v[4:5], v15, off offset:1920
	s_and_b32 exec_lo, exec_lo, vcc_lo
	s_cbranch_execz .LBB0_20
; %bb.19:
	ds_read_b32 v2, v17 offset:12800
	v_add_co_u32 v0, vcc_lo, 0x3000, v0
	v_add_co_ci_u32_e32 v1, vcc_lo, 0, v1, vcc_lo
	s_waitcnt lgkmcnt(0)
	global_store_dword v[0:1], v2, off offset:512
.LBB0_20:
	s_endpgm
	.section	.rodata,"a",@progbits
	.p2align	6, 0x0
	.amdhsa_kernel fft_rtc_back_len3200_factors_10_10_4_4_2_wgs_160_tpt_160_halfLds_half_ip_CI_unitstride_sbrr_R2C_dirReg
		.amdhsa_group_segment_fixed_size 0
		.amdhsa_private_segment_fixed_size 0
		.amdhsa_kernarg_size 88
		.amdhsa_user_sgpr_count 6
		.amdhsa_user_sgpr_private_segment_buffer 1
		.amdhsa_user_sgpr_dispatch_ptr 0
		.amdhsa_user_sgpr_queue_ptr 0
		.amdhsa_user_sgpr_kernarg_segment_ptr 1
		.amdhsa_user_sgpr_dispatch_id 0
		.amdhsa_user_sgpr_flat_scratch_init 0
		.amdhsa_user_sgpr_private_segment_size 0
		.amdhsa_wavefront_size32 1
		.amdhsa_uses_dynamic_stack 0
		.amdhsa_system_sgpr_private_segment_wavefront_offset 0
		.amdhsa_system_sgpr_workgroup_id_x 1
		.amdhsa_system_sgpr_workgroup_id_y 0
		.amdhsa_system_sgpr_workgroup_id_z 0
		.amdhsa_system_sgpr_workgroup_info 0
		.amdhsa_system_vgpr_workitem_id 0
		.amdhsa_next_free_vgpr 109
		.amdhsa_next_free_sgpr 21
		.amdhsa_reserve_vcc 1
		.amdhsa_reserve_flat_scratch 0
		.amdhsa_float_round_mode_32 0
		.amdhsa_float_round_mode_16_64 0
		.amdhsa_float_denorm_mode_32 3
		.amdhsa_float_denorm_mode_16_64 3
		.amdhsa_dx10_clamp 1
		.amdhsa_ieee_mode 1
		.amdhsa_fp16_overflow 0
		.amdhsa_workgroup_processor_mode 1
		.amdhsa_memory_ordered 1
		.amdhsa_forward_progress 0
		.amdhsa_shared_vgpr_count 0
		.amdhsa_exception_fp_ieee_invalid_op 0
		.amdhsa_exception_fp_denorm_src 0
		.amdhsa_exception_fp_ieee_div_zero 0
		.amdhsa_exception_fp_ieee_overflow 0
		.amdhsa_exception_fp_ieee_underflow 0
		.amdhsa_exception_fp_ieee_inexact 0
		.amdhsa_exception_int_div_zero 0
	.end_amdhsa_kernel
	.text
.Lfunc_end0:
	.size	fft_rtc_back_len3200_factors_10_10_4_4_2_wgs_160_tpt_160_halfLds_half_ip_CI_unitstride_sbrr_R2C_dirReg, .Lfunc_end0-fft_rtc_back_len3200_factors_10_10_4_4_2_wgs_160_tpt_160_halfLds_half_ip_CI_unitstride_sbrr_R2C_dirReg
                                        ; -- End function
	.section	.AMDGPU.csdata,"",@progbits
; Kernel info:
; codeLenInByte = 15148
; NumSgprs: 23
; NumVgprs: 109
; ScratchSize: 0
; MemoryBound: 0
; FloatMode: 240
; IeeeMode: 1
; LDSByteSize: 0 bytes/workgroup (compile time only)
; SGPRBlocks: 2
; VGPRBlocks: 13
; NumSGPRsForWavesPerEU: 23
; NumVGPRsForWavesPerEU: 109
; Occupancy: 9
; WaveLimiterHint : 1
; COMPUTE_PGM_RSRC2:SCRATCH_EN: 0
; COMPUTE_PGM_RSRC2:USER_SGPR: 6
; COMPUTE_PGM_RSRC2:TRAP_HANDLER: 0
; COMPUTE_PGM_RSRC2:TGID_X_EN: 1
; COMPUTE_PGM_RSRC2:TGID_Y_EN: 0
; COMPUTE_PGM_RSRC2:TGID_Z_EN: 0
; COMPUTE_PGM_RSRC2:TIDIG_COMP_CNT: 0
	.text
	.p2alignl 6, 3214868480
	.fill 48, 4, 3214868480
	.type	__hip_cuid_7a08c875f13d7d22,@object ; @__hip_cuid_7a08c875f13d7d22
	.section	.bss,"aw",@nobits
	.globl	__hip_cuid_7a08c875f13d7d22
__hip_cuid_7a08c875f13d7d22:
	.byte	0                               ; 0x0
	.size	__hip_cuid_7a08c875f13d7d22, 1

	.ident	"AMD clang version 19.0.0git (https://github.com/RadeonOpenCompute/llvm-project roc-6.4.0 25133 c7fe45cf4b819c5991fe208aaa96edf142730f1d)"
	.section	".note.GNU-stack","",@progbits
	.addrsig
	.addrsig_sym __hip_cuid_7a08c875f13d7d22
	.amdgpu_metadata
---
amdhsa.kernels:
  - .args:
      - .actual_access:  read_only
        .address_space:  global
        .offset:         0
        .size:           8
        .value_kind:     global_buffer
      - .offset:         8
        .size:           8
        .value_kind:     by_value
      - .actual_access:  read_only
        .address_space:  global
        .offset:         16
        .size:           8
        .value_kind:     global_buffer
      - .actual_access:  read_only
        .address_space:  global
        .offset:         24
        .size:           8
        .value_kind:     global_buffer
      - .offset:         32
        .size:           8
        .value_kind:     by_value
      - .actual_access:  read_only
        .address_space:  global
        .offset:         40
        .size:           8
        .value_kind:     global_buffer
      - .actual_access:  read_only
        .address_space:  global
        .offset:         48
        .size:           8
        .value_kind:     global_buffer
      - .offset:         56
        .size:           4
        .value_kind:     by_value
      - .actual_access:  read_only
        .address_space:  global
        .offset:         64
        .size:           8
        .value_kind:     global_buffer
      - .actual_access:  read_only
        .address_space:  global
        .offset:         72
        .size:           8
        .value_kind:     global_buffer
      - .address_space:  global
        .offset:         80
        .size:           8
        .value_kind:     global_buffer
    .group_segment_fixed_size: 0
    .kernarg_segment_align: 8
    .kernarg_segment_size: 88
    .language:       OpenCL C
    .language_version:
      - 2
      - 0
    .max_flat_workgroup_size: 160
    .name:           fft_rtc_back_len3200_factors_10_10_4_4_2_wgs_160_tpt_160_halfLds_half_ip_CI_unitstride_sbrr_R2C_dirReg
    .private_segment_fixed_size: 0
    .sgpr_count:     23
    .sgpr_spill_count: 0
    .symbol:         fft_rtc_back_len3200_factors_10_10_4_4_2_wgs_160_tpt_160_halfLds_half_ip_CI_unitstride_sbrr_R2C_dirReg.kd
    .uniform_work_group_size: 1
    .uses_dynamic_stack: false
    .vgpr_count:     109
    .vgpr_spill_count: 0
    .wavefront_size: 32
    .workgroup_processor_mode: 1
amdhsa.target:   amdgcn-amd-amdhsa--gfx1030
amdhsa.version:
  - 1
  - 2
...

	.end_amdgpu_metadata
